;; amdgpu-corpus repo=ROCm/rocFFT kind=compiled arch=gfx1030 opt=O3
	.text
	.amdgcn_target "amdgcn-amd-amdhsa--gfx1030"
	.amdhsa_code_object_version 6
	.protected	fft_rtc_fwd_len2197_factors_13_13_13_wgs_169_tpt_169_halfLds_half_op_CI_CI_unitstride_sbrr_dirReg ; -- Begin function fft_rtc_fwd_len2197_factors_13_13_13_wgs_169_tpt_169_halfLds_half_op_CI_CI_unitstride_sbrr_dirReg
	.globl	fft_rtc_fwd_len2197_factors_13_13_13_wgs_169_tpt_169_halfLds_half_op_CI_CI_unitstride_sbrr_dirReg
	.p2align	8
	.type	fft_rtc_fwd_len2197_factors_13_13_13_wgs_169_tpt_169_halfLds_half_op_CI_CI_unitstride_sbrr_dirReg,@function
fft_rtc_fwd_len2197_factors_13_13_13_wgs_169_tpt_169_halfLds_half_op_CI_CI_unitstride_sbrr_dirReg: ; @fft_rtc_fwd_len2197_factors_13_13_13_wgs_169_tpt_169_halfLds_half_op_CI_CI_unitstride_sbrr_dirReg
; %bb.0:
	s_clause 0x2
	s_load_dwordx4 s[12:15], s[4:5], 0x0
	s_load_dwordx4 s[8:11], s[4:5], 0x58
	;; [unrolled: 1-line block ×3, first 2 shown]
	v_mul_u32_u24_e32 v1, 0x184, v0
	v_mov_b32_e32 v3, 0
	v_mov_b32_e32 v8, 0
	;; [unrolled: 1-line block ×3, first 2 shown]
	v_add_nc_u32_sdwa v10, s6, v1 dst_sel:DWORD dst_unused:UNUSED_PAD src0_sel:DWORD src1_sel:WORD_1
	v_mov_b32_e32 v11, v3
	s_waitcnt lgkmcnt(0)
	v_cmp_lt_u64_e64 s0, s[14:15], 2
	s_and_b32 vcc_lo, exec_lo, s0
	s_cbranch_vccnz .LBB0_8
; %bb.1:
	s_load_dwordx2 s[0:1], s[4:5], 0x10
	v_mov_b32_e32 v8, 0
	v_mov_b32_e32 v9, 0
	s_add_u32 s2, s18, 8
	s_addc_u32 s3, s19, 0
	v_mov_b32_e32 v1, v8
	s_add_u32 s6, s16, 8
	v_mov_b32_e32 v2, v9
	s_addc_u32 s7, s17, 0
	s_mov_b64 s[22:23], 1
	s_waitcnt lgkmcnt(0)
	s_add_u32 s20, s0, 8
	s_addc_u32 s21, s1, 0
.LBB0_2:                                ; =>This Inner Loop Header: Depth=1
	s_load_dwordx2 s[24:25], s[20:21], 0x0
                                        ; implicit-def: $vgpr5_vgpr6
	s_mov_b32 s0, exec_lo
	s_waitcnt lgkmcnt(0)
	v_or_b32_e32 v4, s25, v11
	v_cmpx_ne_u64_e32 0, v[3:4]
	s_xor_b32 s1, exec_lo, s0
	s_cbranch_execz .LBB0_4
; %bb.3:                                ;   in Loop: Header=BB0_2 Depth=1
	v_cvt_f32_u32_e32 v4, s24
	v_cvt_f32_u32_e32 v5, s25
	s_sub_u32 s0, 0, s24
	s_subb_u32 s26, 0, s25
	v_fmac_f32_e32 v4, 0x4f800000, v5
	v_rcp_f32_e32 v4, v4
	v_mul_f32_e32 v4, 0x5f7ffffc, v4
	v_mul_f32_e32 v5, 0x2f800000, v4
	v_trunc_f32_e32 v5, v5
	v_fmac_f32_e32 v4, 0xcf800000, v5
	v_cvt_u32_f32_e32 v5, v5
	v_cvt_u32_f32_e32 v4, v4
	v_mul_lo_u32 v6, s0, v5
	v_mul_hi_u32 v7, s0, v4
	v_mul_lo_u32 v12, s26, v4
	v_add_nc_u32_e32 v6, v7, v6
	v_mul_lo_u32 v7, s0, v4
	v_add_nc_u32_e32 v6, v6, v12
	v_mul_hi_u32 v12, v4, v7
	v_mul_lo_u32 v13, v4, v6
	v_mul_hi_u32 v14, v4, v6
	v_mul_hi_u32 v15, v5, v7
	v_mul_lo_u32 v7, v5, v7
	v_mul_hi_u32 v16, v5, v6
	v_mul_lo_u32 v6, v5, v6
	v_add_co_u32 v12, vcc_lo, v12, v13
	v_add_co_ci_u32_e32 v13, vcc_lo, 0, v14, vcc_lo
	v_add_co_u32 v7, vcc_lo, v12, v7
	v_add_co_ci_u32_e32 v7, vcc_lo, v13, v15, vcc_lo
	v_add_co_ci_u32_e32 v12, vcc_lo, 0, v16, vcc_lo
	v_add_co_u32 v6, vcc_lo, v7, v6
	v_add_co_ci_u32_e32 v7, vcc_lo, 0, v12, vcc_lo
	v_add_co_u32 v4, vcc_lo, v4, v6
	v_add_co_ci_u32_e32 v5, vcc_lo, v5, v7, vcc_lo
	v_mul_hi_u32 v6, s0, v4
	v_mul_lo_u32 v12, s26, v4
	v_mul_lo_u32 v7, s0, v5
	v_add_nc_u32_e32 v6, v6, v7
	v_mul_lo_u32 v7, s0, v4
	v_add_nc_u32_e32 v6, v6, v12
	v_mul_hi_u32 v12, v4, v7
	v_mul_lo_u32 v13, v4, v6
	v_mul_hi_u32 v14, v4, v6
	v_mul_hi_u32 v15, v5, v7
	v_mul_lo_u32 v7, v5, v7
	v_mul_hi_u32 v16, v5, v6
	v_mul_lo_u32 v6, v5, v6
	v_add_co_u32 v12, vcc_lo, v12, v13
	v_add_co_ci_u32_e32 v13, vcc_lo, 0, v14, vcc_lo
	v_add_co_u32 v7, vcc_lo, v12, v7
	v_add_co_ci_u32_e32 v7, vcc_lo, v13, v15, vcc_lo
	v_add_co_ci_u32_e32 v12, vcc_lo, 0, v16, vcc_lo
	v_add_co_u32 v6, vcc_lo, v7, v6
	v_add_co_ci_u32_e32 v7, vcc_lo, 0, v12, vcc_lo
	v_add_co_u32 v6, vcc_lo, v4, v6
	v_add_co_ci_u32_e32 v12, vcc_lo, v5, v7, vcc_lo
	v_mul_hi_u32 v14, v10, v6
	v_mad_u64_u32 v[6:7], null, v11, v6, 0
	v_mad_u64_u32 v[4:5], null, v10, v12, 0
	;; [unrolled: 1-line block ×3, first 2 shown]
	v_add_co_u32 v4, vcc_lo, v14, v4
	v_add_co_ci_u32_e32 v5, vcc_lo, 0, v5, vcc_lo
	v_add_co_u32 v4, vcc_lo, v4, v6
	v_add_co_ci_u32_e32 v4, vcc_lo, v5, v7, vcc_lo
	v_add_co_ci_u32_e32 v5, vcc_lo, 0, v13, vcc_lo
	v_add_co_u32 v7, vcc_lo, v4, v12
	v_add_co_ci_u32_e32 v6, vcc_lo, 0, v5, vcc_lo
	v_mul_lo_u32 v12, s25, v7
	v_mad_u64_u32 v[4:5], null, s24, v7, 0
	v_mul_lo_u32 v13, s24, v6
	v_sub_co_u32 v4, vcc_lo, v10, v4
	v_add3_u32 v5, v5, v13, v12
	v_sub_nc_u32_e32 v12, v11, v5
	v_subrev_co_ci_u32_e64 v12, s0, s25, v12, vcc_lo
	v_add_co_u32 v13, s0, v7, 2
	v_add_co_ci_u32_e64 v14, s0, 0, v6, s0
	v_sub_co_u32 v15, s0, v4, s24
	v_sub_co_ci_u32_e32 v5, vcc_lo, v11, v5, vcc_lo
	v_subrev_co_ci_u32_e64 v12, s0, 0, v12, s0
	v_cmp_le_u32_e32 vcc_lo, s24, v15
	v_cmp_eq_u32_e64 s0, s25, v5
	v_cndmask_b32_e64 v15, 0, -1, vcc_lo
	v_cmp_le_u32_e32 vcc_lo, s25, v12
	v_cndmask_b32_e64 v16, 0, -1, vcc_lo
	v_cmp_le_u32_e32 vcc_lo, s24, v4
	;; [unrolled: 2-line block ×3, first 2 shown]
	v_cndmask_b32_e64 v17, 0, -1, vcc_lo
	v_cmp_eq_u32_e32 vcc_lo, s25, v12
	v_cndmask_b32_e64 v4, v17, v4, s0
	v_cndmask_b32_e32 v12, v16, v15, vcc_lo
	v_add_co_u32 v15, vcc_lo, v7, 1
	v_add_co_ci_u32_e32 v16, vcc_lo, 0, v6, vcc_lo
	v_cmp_ne_u32_e32 vcc_lo, 0, v12
	v_cndmask_b32_e32 v5, v16, v14, vcc_lo
	v_cndmask_b32_e32 v12, v15, v13, vcc_lo
	v_cmp_ne_u32_e32 vcc_lo, 0, v4
	v_cndmask_b32_e32 v6, v6, v5, vcc_lo
	v_cndmask_b32_e32 v5, v7, v12, vcc_lo
.LBB0_4:                                ;   in Loop: Header=BB0_2 Depth=1
	s_andn2_saveexec_b32 s0, s1
	s_cbranch_execz .LBB0_6
; %bb.5:                                ;   in Loop: Header=BB0_2 Depth=1
	v_cvt_f32_u32_e32 v4, s24
	s_sub_i32 s1, 0, s24
	v_rcp_iflag_f32_e32 v4, v4
	v_mul_f32_e32 v4, 0x4f7ffffe, v4
	v_cvt_u32_f32_e32 v4, v4
	v_mul_lo_u32 v5, s1, v4
	v_mul_hi_u32 v5, v4, v5
	v_add_nc_u32_e32 v4, v4, v5
	v_mul_hi_u32 v4, v10, v4
	v_mul_lo_u32 v5, v4, s24
	v_add_nc_u32_e32 v6, 1, v4
	v_sub_nc_u32_e32 v5, v10, v5
	v_subrev_nc_u32_e32 v7, s24, v5
	v_cmp_le_u32_e32 vcc_lo, s24, v5
	v_cndmask_b32_e32 v5, v5, v7, vcc_lo
	v_cndmask_b32_e32 v4, v4, v6, vcc_lo
	v_cmp_le_u32_e32 vcc_lo, s24, v5
	v_add_nc_u32_e32 v6, 1, v4
	v_cndmask_b32_e32 v5, v4, v6, vcc_lo
	v_mov_b32_e32 v6, v3
.LBB0_6:                                ;   in Loop: Header=BB0_2 Depth=1
	s_or_b32 exec_lo, exec_lo, s0
	v_mul_lo_u32 v4, v6, s24
	v_mul_lo_u32 v7, v5, s25
	s_load_dwordx2 s[0:1], s[6:7], 0x0
	v_mad_u64_u32 v[12:13], null, v5, s24, 0
	s_load_dwordx2 s[24:25], s[2:3], 0x0
	s_add_u32 s22, s22, 1
	s_addc_u32 s23, s23, 0
	s_add_u32 s2, s2, 8
	s_addc_u32 s3, s3, 0
	s_add_u32 s6, s6, 8
	v_add3_u32 v4, v13, v7, v4
	v_sub_co_u32 v7, vcc_lo, v10, v12
	s_addc_u32 s7, s7, 0
	s_add_u32 s20, s20, 8
	v_sub_co_ci_u32_e32 v4, vcc_lo, v11, v4, vcc_lo
	s_addc_u32 s21, s21, 0
	s_waitcnt lgkmcnt(0)
	v_mul_lo_u32 v10, s0, v4
	v_mul_lo_u32 v11, s1, v7
	v_mad_u64_u32 v[8:9], null, s0, v7, v[8:9]
	v_mul_lo_u32 v4, s24, v4
	v_mul_lo_u32 v12, s25, v7
	v_mad_u64_u32 v[1:2], null, s24, v7, v[1:2]
	v_cmp_ge_u64_e64 s0, s[22:23], s[14:15]
	v_add3_u32 v9, v11, v9, v10
	v_add3_u32 v2, v12, v2, v4
	s_and_b32 vcc_lo, exec_lo, s0
	s_cbranch_vccnz .LBB0_9
; %bb.7:                                ;   in Loop: Header=BB0_2 Depth=1
	v_mov_b32_e32 v11, v6
	v_mov_b32_e32 v10, v5
	s_branch .LBB0_2
.LBB0_8:
	v_mov_b32_e32 v1, v8
	v_mov_b32_e32 v5, v10
	;; [unrolled: 1-line block ×4, first 2 shown]
.LBB0_9:
	s_load_dwordx2 s[0:1], s[4:5], 0x28
	v_mul_hi_u32 v35, 0x183c978, v0
	s_lshl_b64 s[4:5], s[14:15], 3
                                        ; implicit-def: $sgpr14
                                        ; implicit-def: $sgpr6_sgpr7
                                        ; implicit-def: $vgpr7
	s_add_u32 s2, s18, s4
	s_addc_u32 s3, s19, s5
	s_waitcnt lgkmcnt(0)
	v_cmp_gt_u64_e32 vcc_lo, s[0:1], v[5:6]
	v_cmp_le_u64_e64 s0, s[0:1], v[5:6]
	s_and_saveexec_b32 s1, s0
	s_xor_b32 s0, exec_lo, s1
; %bb.10:
	v_mul_u32_u24_e32 v3, 0xa9, v35
	s_mov_b64 s[6:7], 0
	s_mov_b32 s14, 0
                                        ; implicit-def: $vgpr35
                                        ; implicit-def: $vgpr8_vgpr9
	v_sub_nc_u32_e32 v7, v0, v3
                                        ; implicit-def: $vgpr0
; %bb.11:
	s_or_saveexec_b32 s1, s0
	v_mov_b32_e32 v3, s6
	v_mov_b32_e32 v4, s7
	;; [unrolled: 1-line block ×3, first 2 shown]
                                        ; implicit-def: $vgpr34
                                        ; implicit-def: $vgpr29
                                        ; implicit-def: $vgpr33
                                        ; implicit-def: $vgpr28
                                        ; implicit-def: $vgpr32
                                        ; implicit-def: $vgpr26
                                        ; implicit-def: $vgpr31
                                        ; implicit-def: $vgpr23
                                        ; implicit-def: $vgpr17
                                        ; implicit-def: $vgpr18
                                        ; implicit-def: $vgpr13
                                        ; implicit-def: $vgpr11
                                        ; implicit-def: $vgpr20
                                        ; implicit-def: $vgpr14
                                        ; implicit-def: $vgpr22
                                        ; implicit-def: $vgpr15
                                        ; implicit-def: $vgpr27
                                        ; implicit-def: $vgpr19
                                        ; implicit-def: $vgpr30
                                        ; implicit-def: $vgpr21
                                        ; implicit-def: $vgpr24
                                        ; implicit-def: $vgpr25
                                        ; implicit-def: $vgpr16
                                        ; implicit-def: $vgpr12
	s_xor_b32 exec_lo, exec_lo, s1
	s_cbranch_execz .LBB0_13
; %bb.12:
	s_add_u32 s4, s16, s4
	s_addc_u32 s5, s17, s5
	v_lshlrev_b64 v[8:9], 2, v[8:9]
	s_load_dwordx2 s[4:5], s[4:5], 0x0
	s_waitcnt lgkmcnt(0)
	v_mul_lo_u32 v7, s5, v5
	v_mul_lo_u32 v10, s4, v6
	v_mad_u64_u32 v[3:4], null, s4, v5, 0
	v_add3_u32 v4, v4, v10, v7
	v_mul_u32_u24_e32 v7, 0xa9, v35
	v_lshlrev_b64 v[3:4], 2, v[3:4]
	v_sub_nc_u32_e32 v7, v0, v7
	v_add_co_u32 v0, s0, s8, v3
	v_add_co_ci_u32_e64 v3, s0, s9, v4, s0
	v_lshlrev_b32_e32 v4, 2, v7
	v_add_co_u32 v0, s0, v0, v8
	v_add_co_ci_u32_e64 v8, s0, v3, v9, s0
	v_add_co_u32 v3, s0, v0, v4
	v_add_co_ci_u32_e64 v4, s0, 0, v8, s0
	;; [unrolled: 2-line block ×5, first 2 shown]
	s_clause 0xc
	global_load_dword v29, v[3:4], off offset:676
	global_load_dword v28, v[3:4], off offset:1352
	;; [unrolled: 1-line block ×12, first 2 shown]
	global_load_dword v10, v[3:4], off
	v_mov_b32_e32 v8, 0
	v_mov_b32_e32 v3, v7
	;; [unrolled: 1-line block ×3, first 2 shown]
	s_waitcnt vmcnt(12)
	v_lshrrev_b32_e32 v34, 16, v29
	s_waitcnt vmcnt(11)
	v_lshrrev_b32_e32 v33, 16, v28
	;; [unrolled: 2-line block ×12, first 2 shown]
.LBB0_13:
	s_or_b32 exec_lo, exec_lo, s1
	s_waitcnt vmcnt(0)
	v_add_f16_e32 v0, v29, v10
	v_add_f16_sdwa v8, v34, v10 dst_sel:DWORD dst_unused:UNUSED_PAD src0_sel:DWORD src1_sel:WORD_1
	v_add_f16_e32 v9, v29, v14
	v_add_f16_e32 v35, v34, v20
	v_sub_f16_e32 v34, v34, v20
	v_add_f16_e32 v0, v28, v0
	v_add_f16_e32 v8, v33, v8
	;; [unrolled: 1-line block ×3, first 2 shown]
	v_pk_mul_f16 v44, 0x388b3b15, v9 op_sel_hi:[1,0]
	v_add_f16_e32 v37, v33, v22
	v_add_f16_e32 v0, v26, v0
	;; [unrolled: 1-line block ×3, first 2 shown]
	v_sub_f16_e32 v33, v33, v22
	v_add_f16_e32 v38, v26, v19
	v_add_f16_e32 v42, v18, v25
	v_add_f16_e32 v0, v23, v0
	v_add_f16_e32 v8, v31, v8
	v_pk_fma_f16 v45, 0xba95b770, v34, v44 op_sel_hi:[1,0,1] neg_lo:[0,1,0] neg_hi:[0,1,0]
	v_add_f16_e32 v39, v32, v27
	v_sub_f16_e32 v32, v32, v27
	v_add_f16_e32 v0, v18, v0
	v_add_f16_e32 v8, v17, v8
	v_sub_f16_e32 v18, v18, v25
	v_add_f16_e32 v40, v23, v21
	v_add_f16_e32 v41, v31, v30
	;; [unrolled: 1-line block ×4, first 2 shown]
	v_sub_f16_e32 v23, v23, v21
	v_sub_f16_e32 v31, v31, v30
	v_pk_add_f16 v45, v45, v10 op_sel_hi:[1,0]
	v_add_f16_e32 v0, v12, v0
	v_add_f16_e32 v8, v16, v8
	v_sub_f16_e32 v26, v26, v19
	v_sub_f16_e32 v28, v28, v15
	v_add_f16_e32 v43, v17, v24
	v_add_f16_e32 v0, v25, v0
	;; [unrolled: 1-line block ×3, first 2 shown]
	v_pk_mul_f16 v25, 0xb5ac388b, v36 op_sel_hi:[1,0]
	v_sub_f16_e32 v29, v29, v14
	v_pk_mul_f16 v47, 0x3b15b5ac, v38 op_sel_hi:[1,0]
	v_add_f16_e32 v0, v21, v0
	v_add_f16_e32 v8, v30, v8
	v_pk_mul_f16 v21, 0xbbc42fb7, v38 op_sel_hi:[1,0]
	v_pk_fma_f16 v30, 0xbb7bba95, v33, v25 op_sel_hi:[1,0,1] neg_lo:[0,1,0] neg_hi:[0,1,0]
	v_pk_mul_f16 v50, 0x2fb73b15, v40 op_sel_hi:[1,0]
	v_add_f16_e32 v0, v19, v0
	v_add_f16_e32 v8, v27, v8
	v_pk_fma_f16 v27, 0xb3a8bbf1, v32, v21 op_sel_hi:[1,0,1] neg_lo:[0,1,0] neg_hi:[0,1,0]
	v_pk_add_f16 v30, v30, v45
	v_pk_mul_f16 v19, 0xb9fdb5ac, v40 op_sel_hi:[1,0]
	v_add_f16_e32 v0, v15, v0
	v_add_f16_e32 v8, v22, v8
	v_sub_f16_e32 v15, v17, v24
	v_pk_add_f16 v22, v27, v30
	v_pk_mul_f16 v30, 0xb5ac2fb7, v9 op_sel_hi:[1,0]
	v_pk_fma_f16 v17, 0x394ebb7b, v31, v19 op_sel_hi:[1,0,1] neg_lo:[0,1,0] neg_hi:[0,1,0]
	v_add_f16_e32 v20, v20, v8
	v_pk_mul_f16 v8, 0x2fb7b9fd, v42 op_sel_hi:[1,0]
	v_add_f16_e32 v27, v13, v16
	v_sub_f16_e32 v16, v13, v16
	v_pk_fma_f16 v13, 0xbb7bbbf1, v34, v30 op_sel_hi:[1,0,1] neg_lo:[0,1,0] neg_hi:[0,1,0]
	v_pk_mul_f16 v45, 0xb9fdbbc4, v36 op_sel_hi:[1,0]
	v_pk_mul_f16 v9, 0xbbc4b9fd, v9 op_sel_hi:[1,0]
	v_add_f16_e32 v24, v14, v0
	v_add_f16_e32 v14, v11, v12
	v_pk_add_f16 v17, v17, v22
	v_pk_fma_f16 v22, 0x3bf1b94e, v15, v8 op_sel_hi:[1,0,1] neg_lo:[0,1,0] neg_hi:[0,1,0]
	v_pk_add_f16 v13, v13, v10 op_sel_hi:[1,0]
	v_pk_fma_f16 v46, 0x394eb3a8, v33, v45 op_sel_hi:[1,0,1] neg_lo:[0,1,0] neg_hi:[0,1,0]
	v_pk_fma_f16 v49, 0xb3a8b94e, v34, v9 op_sel_hi:[1,0,1] neg_lo:[0,1,0] neg_hi:[0,1,0]
	v_pk_mul_f16 v36, 0x3b152fb7, v36 op_sel_hi:[1,0]
	v_pk_fma_f16 v9, 0xb3a8b94e, v34, v9 op_sel_hi:[1,0,1]
	v_pk_fma_f16 v30, 0xbb7bbbf1, v34, v30 op_sel_hi:[1,0,1]
	;; [unrolled: 1-line block ×3, first 2 shown]
	v_pk_add_f16 v17, v22, v17
	v_pk_mul_f16 v22, 0x3b15bbc4, v14 op_sel_hi:[1,0]
	v_pk_add_f16 v13, v46, v13
	v_pk_fma_f16 v46, 0x37703b7b, v32, v47 op_sel_hi:[1,0,1] neg_lo:[0,1,0] neg_hi:[0,1,0]
	v_pk_add_f16 v49, v49, v10 op_sel_hi:[1,0]
	v_pk_fma_f16 v51, 0x37703bf1, v33, v36 op_sel_hi:[1,0,1] neg_lo:[0,1,0] neg_hi:[0,1,0]
	v_pk_mul_f16 v38, 0xb9fd388b, v38 op_sel_hi:[1,0]
	v_pk_add_f16 v9, v9, v10 op_sel_hi:[1,0]
	v_pk_fma_f16 v36, 0x37703bf1, v33, v36 op_sel_hi:[1,0,1]
	v_pk_add_f16 v30, v30, v10 op_sel_hi:[1,0]
	v_pk_fma_f16 v44, 0x394eb3a8, v33, v45 op_sel_hi:[1,0,1]
	;; [unrolled: 2-line block ×3, first 2 shown]
	v_pk_fma_f16 v48, 0x3770b3a8, v16, v22 op_sel_hi:[1,0,1] neg_lo:[0,1,0] neg_hi:[0,1,0]
	v_pk_add_f16 v13, v46, v13
	v_pk_fma_f16 v46, 0xbbf13770, v31, v50 op_sel_hi:[1,0,1] neg_lo:[0,1,0] neg_hi:[0,1,0]
	v_pk_add_f16 v49, v51, v49
	v_pk_fma_f16 v51, 0xb94eba95, v32, v38 op_sel_hi:[1,0,1] neg_lo:[0,1,0] neg_hi:[0,1,0]
	v_pk_mul_f16 v40, 0x388bbbc4, v40 op_sel_hi:[1,0]
	v_pk_add_f16 v9, v36, v9
	v_pk_fma_f16 v33, 0xb94eba95, v32, v38 op_sel_hi:[1,0,1]
	v_pk_add_f16 v30, v44, v30
	v_pk_fma_f16 v36, 0x37703b7b, v32, v47 op_sel_hi:[1,0,1]
	;; [unrolled: 2-line block ×3, first 2 shown]
	v_pk_add_f16 v46, v46, v13
	v_pk_add_f16 v49, v51, v49
	v_pk_fma_f16 v51, 0x3a9533a8, v31, v40 op_sel_hi:[1,0,1] neg_lo:[0,1,0] neg_hi:[0,1,0]
	v_pk_add_f16 v13, v48, v17
	v_pk_mul_f16 v17, 0xb5ac3b15, v42 op_sel_hi:[1,0]
	v_pk_add_f16 v9, v33, v9
	v_pk_fma_f16 v32, 0x3a9533a8, v31, v40 op_sel_hi:[1,0,1]
	v_pk_mul_f16 v52, 0xbbc4388b, v42 op_sel_hi:[1,0]
	v_pk_add_f16 v30, v36, v30
	v_pk_fma_f16 v33, 0xbbf13770, v31, v50 op_sel_hi:[1,0,1]
	v_pk_add_f16 v21, v21, v25
	v_pk_fma_f16 v19, 0x394ebb7b, v31, v19 op_sel_hi:[1,0,1]
	v_pk_mul_f16 v54, 0x388bb9fd, v14 op_sel_hi:[1,0]
	v_pk_add_f16 v48, v51, v49
	v_pk_fma_f16 v49, 0xbb7b3770, v15, v17 op_sel_hi:[1,0,1] neg_lo:[0,1,0] neg_hi:[0,1,0]
	v_pk_mul_f16 v14, 0x2fb7b5ac, v14 op_sel_hi:[1,0]
	v_pk_add_f16 v9, v32, v9
	v_pk_fma_f16 v17, 0xbb7b3770, v15, v17 op_sel_hi:[1,0,1]
	v_pk_add_f16 v25, v33, v30
	v_pk_fma_f16 v30, 0x33a8ba95, v15, v52 op_sel_hi:[1,0,1]
	;; [unrolled: 2-line block ×3, first 2 shown]
	v_pk_fma_f16 v53, 0x33a8ba95, v15, v52 op_sel_hi:[1,0,1] neg_lo:[0,1,0] neg_hi:[0,1,0]
	v_pk_add_f16 v9, v17, v9
	v_pk_fma_f16 v15, 0x3bf1bb7b, v16, v14 op_sel_hi:[1,0,1]
	v_pk_add_f16 v17, v30, v25
	v_pk_fma_f16 v21, 0x3a95b94e, v16, v54 op_sel_hi:[1,0,1]
	;; [unrolled: 2-line block ×3, first 2 shown]
	v_pk_add_f16 v42, v53, v46
	v_pk_fma_f16 v46, 0x3a95b94e, v16, v54 op_sel_hi:[1,0,1] neg_lo:[0,1,0] neg_hi:[0,1,0]
	v_pk_add_f16 v22, v49, v48
	v_pk_fma_f16 v16, 0x3bf1bb7b, v16, v14 op_sel_hi:[1,0,1] neg_lo:[0,1,0] neg_hi:[0,1,0]
	v_pk_add_f16 v9, v15, v9
	v_pk_add_f16 v17, v21, v17
	;; [unrolled: 1-line block ×3, first 2 shown]
	v_mad_u32_u24 v0, v7, 26, 0
	v_pk_mul_f16 v21, 0xba95b770, v29 op_sel_hi:[1,0]
	v_pk_add_f16 v14, v46, v42
	v_pk_add_f16 v15, v16, v22
	v_alignbit_b32 v16, v9, v9, 16
	v_alignbit_b32 v8, v17, v17, 16
	;; [unrolled: 1-line block ×3, first 2 shown]
	s_load_dwordx2 s[0:1], s[2:3], 0x0
	ds_write_b16 v0, v24
	ds_write_b128 v0, v[13:16] offset:2
	ds_write_b64 v0, v[8:9] offset:18
	v_pk_fma_f16 v8, 0x388b3b15, v35, v21 op_sel_hi:[1,0,1]
	v_pk_mul_f16 v13, 0xbb7bba95, v28 op_sel_hi:[1,0]
	v_sub_f16_e32 v17, v11, v12
	v_pk_mul_f16 v14, 0xb3a8bbf1, v26 op_sel_hi:[1,0]
	v_pk_mul_f16 v15, 0x394ebb7b, v23 op_sel_hi:[1,0]
	v_pk_add_f16 v8, v8, v10 op_sel:[0,1]
	v_pk_fma_f16 v11, 0xb5ac388b, v37, v13 op_sel_hi:[1,0,1]
	v_pk_mul_f16 v22, 0x3bf1b94e, v18 op_sel_hi:[1,0]
	v_pk_mul_f16 v16, 0xbb7bbbf1, v29 op_sel_hi:[1,0]
	;; [unrolled: 1-line block ×4, first 2 shown]
	v_pk_add_f16 v8, v11, v8
	v_pk_fma_f16 v11, 0xbbc42fb7, v39, v14 op_sel_hi:[1,0,1]
	v_pk_mul_f16 v28, 0x37703bf1, v28 op_sel_hi:[1,0]
	v_pk_fma_f16 v12, 0xb5ac2fb7, v35, v16 op_sel_hi:[1,0,1]
	v_pk_mul_f16 v30, 0x37703b7b, v26 op_sel_hi:[1,0]
	v_pk_mul_f16 v26, 0xb94eba95, v26 op_sel_hi:[1,0]
	v_pk_add_f16 v8, v11, v8
	v_pk_fma_f16 v11, 0xb9fdb5ac, v41, v15 op_sel_hi:[1,0,1]
	v_pk_fma_f16 v34, 0x3b152fb7, v37, v28 op_sel_hi:[1,0,1]
	;; [unrolled: 1-line block ×3, first 2 shown]
	v_pk_fma_f16 v28, 0x3b152fb7, v37, v28 op_sel_hi:[1,0,1] neg_lo:[0,0,1] neg_hi:[0,0,1]
	v_pk_add_f16 v12, v12, v10 op_sel:[0,1]
	v_pk_add_f16 v8, v11, v8
	v_pk_fma_f16 v11, 0x2fb7b9fd, v43, v22 op_sel_hi:[1,0,1]
	v_pk_fma_f16 v25, 0xb9fdbbc4, v37, v24 op_sel_hi:[1,0,1]
	v_pk_fma_f16 v16, 0xb5ac2fb7, v35, v16 op_sel_hi:[1,0,1] neg_lo:[0,0,1] neg_hi:[0,0,1]
	v_pk_fma_f16 v21, 0x388b3b15, v35, v21 op_sel_hi:[1,0,1] neg_lo:[0,0,1] neg_hi:[0,0,1]
	v_pk_mul_f16 v33, 0x33a8ba95, v18 op_sel_hi:[1,0]
	v_pk_add_f16 v8, v11, v8
	v_pk_mul_f16 v11, 0xb3a8b94e, v29 op_sel_hi:[1,0]
	v_pk_mul_f16 v29, 0xbbf13770, v23 op_sel_hi:[1,0]
	;; [unrolled: 1-line block ×3, first 2 shown]
	v_pk_add_f16 v12, v25, v12
	v_pk_fma_f16 v25, 0x3b15b5ac, v39, v30 op_sel_hi:[1,0,1]
	v_pk_fma_f16 v32, 0xbbc4b9fd, v35, v11 op_sel_hi:[1,0,1]
	v_pk_fma_f16 v11, 0xbbc4b9fd, v35, v11 op_sel_hi:[1,0,1] neg_lo:[0,0,1] neg_hi:[0,0,1]
	v_pk_mul_f16 v18, 0xbb7b3770, v18 op_sel_hi:[1,0]
	v_pk_add_f16 v16, v16, v10 op_sel:[0,1]
	v_pk_fma_f16 v24, 0xb9fdbbc4, v37, v24 op_sel_hi:[1,0,1] neg_lo:[0,0,1] neg_hi:[0,0,1]
	v_pk_add_f16 v32, v32, v10 op_sel:[0,1]
	v_pk_add_f16 v54, v11, v10 op_sel:[0,1]
	v_pk_add_f16 v11, v52, v8
	v_pk_add_f16 v10, v21, v10 op_sel:[0,1]
	v_pk_fma_f16 v13, 0xb5ac388b, v37, v13 op_sel_hi:[1,0,1] neg_lo:[0,0,1] neg_hi:[0,0,1]
	v_pk_add_f16 v32, v34, v32
	v_pk_fma_f16 v34, 0xb9fd388b, v39, v26 op_sel_hi:[1,0,1]
	v_pk_add_f16 v8, v28, v54
	v_pk_fma_f16 v26, 0xb9fd388b, v39, v26 op_sel_hi:[1,0,1] neg_lo:[0,0,1] neg_hi:[0,0,1]
	v_pk_add_f16 v12, v25, v12
	v_pk_fma_f16 v25, 0x2fb73b15, v41, v29 op_sel_hi:[1,0,1]
	v_pk_add_f16 v32, v34, v32
	v_pk_fma_f16 v34, 0x388bbbc4, v41, v23 op_sel_hi:[1,0,1]
	v_pk_add_f16 v8, v26, v8
	v_pk_fma_f16 v23, 0x388bbbc4, v41, v23 op_sel_hi:[1,0,1] neg_lo:[0,0,1] neg_hi:[0,0,1]
	v_pk_add_f16 v16, v24, v16
	v_pk_add_f16 v10, v13, v10
	;; [unrolled: 1-line block ×3, first 2 shown]
	v_pk_fma_f16 v34, 0xb5ac3b15, v43, v18 op_sel_hi:[1,0,1]
	v_pk_add_f16 v8, v23, v8
	v_pk_fma_f16 v23, 0x3b15b5ac, v39, v30 op_sel_hi:[1,0,1] neg_lo:[0,0,1] neg_hi:[0,0,1]
	v_pk_fma_f16 v13, 0xbbc42fb7, v39, v14 op_sel_hi:[1,0,1] neg_lo:[0,0,1] neg_hi:[0,0,1]
	;; [unrolled: 1-line block ×3, first 2 shown]
	v_and_b32_e32 v18, 0xff, v7
	v_pk_add_f16 v12, v25, v12
	v_pk_fma_f16 v25, 0xbbc4388b, v43, v33 op_sel_hi:[1,0,1]
	v_pk_add_f16 v16, v23, v16
	v_pk_fma_f16 v23, 0x2fb73b15, v41, v29 op_sel_hi:[1,0,1] neg_lo:[0,0,1] neg_hi:[0,0,1]
	v_pk_add_f16 v10, v13, v10
	v_pk_fma_f16 v13, 0xb9fdb5ac, v41, v15 op_sel_hi:[1,0,1] neg_lo:[0,0,1] neg_hi:[0,0,1]
	v_mul_lo_u16 v15, 0x4f, v18
	v_pk_add_f16 v12, v25, v12
	v_pk_mul_f16 v25, 0x3a95b94e, v17 op_sel_hi:[1,0]
	v_pk_mul_f16 v17, 0x3bf1bb7b, v17 op_sel_hi:[1,0]
	v_pk_add_f16 v14, v14, v8
	v_pk_add_f16 v16, v23, v16
	v_pk_fma_f16 v18, 0xbbc4388b, v43, v33 op_sel_hi:[1,0,1] neg_lo:[0,0,1] neg_hi:[0,0,1]
	v_lshrrev_b16 v8, 10, v15
	v_pk_fma_f16 v21, 0x2fb7b5ac, v27, v17 op_sel_hi:[1,0,1]
	v_pk_add_f16 v10, v13, v10
	v_pk_fma_f16 v13, 0x2fb7b9fd, v43, v22 op_sel_hi:[1,0,1] neg_lo:[0,0,1] neg_hi:[0,0,1]
	v_pk_fma_f16 v15, 0x2fb7b5ac, v27, v17 op_sel_hi:[1,0,1] neg_lo:[0,0,1] neg_hi:[0,0,1]
	v_pk_add_f16 v16, v18, v16
	v_pk_fma_f16 v17, 0x388bb9fd, v27, v25 op_sel_hi:[1,0,1] neg_lo:[0,0,1] neg_hi:[0,0,1]
	v_mul_lo_u16 v18, v8, 13
	v_pk_add_f16 v13, v13, v10
	v_pk_fma_f16 v22, 0x3b15bbc4, v27, v31 op_sel_hi:[1,0,1] neg_lo:[0,0,1] neg_hi:[0,0,1]
	v_pk_add_f16 v14, v15, v14
	v_pk_add_f16 v15, v17, v16
	v_sub_nc_u16 v10, v7, v18
	v_mov_b32_e32 v16, 12
	v_pk_fma_f16 v53, 0x388bb9fd, v27, v25 op_sel_hi:[1,0,1]
	v_pk_add_f16 v28, v34, v32
	v_mad_i32_i24 v9, 0xffffffe8, v7, v0
	v_pk_add_f16 v17, v22, v13
	v_mul_u32_u24_sdwa v18, v10, v16 dst_sel:DWORD dst_unused:UNUSED_PAD src0_sel:BYTE_0 src1_sel:DWORD
	v_pk_add_f16 v12, v53, v12
	v_pk_add_f16 v13, v21, v28
	v_alignbit_b32 v14, v14, v14, 16
	s_waitcnt lgkmcnt(0)
	s_barrier
	buffer_gl0_inv
	ds_read_u16 v19, v9
	ds_read_u16 v36, v9 offset:338
	ds_read_u16 v38, v9 offset:676
	;; [unrolled: 1-line block ×12, first 2 shown]
	s_waitcnt lgkmcnt(0)
	s_barrier
	v_alignbit_b32 v15, v15, v15, 16
	v_alignbit_b32 v16, v17, v17, 16
	buffer_gl0_inv
	ds_write_b16 v0, v20
	ds_write_b128 v0, v[11:14] offset:2
	v_lshlrev_b32_e32 v11, 2, v18
	ds_write_b64 v0, v[15:16] offset:18
	s_waitcnt lgkmcnt(0)
	s_barrier
	buffer_gl0_inv
	s_clause 0x2
	global_load_dwordx4 v[23:26], v11, s[12:13]
	global_load_dwordx4 v[27:30], v11, s[12:13] offset:16
	global_load_dwordx4 v[31:34], v11, s[12:13] offset:32
	ds_read_u16 v13, v9 offset:338
	ds_read_u16 v14, v9 offset:676
	;; [unrolled: 1-line block ×8, first 2 shown]
	ds_read_u16 v41, v9
	ds_read_u16 v43, v9 offset:3042
	ds_read_u16 v52, v9 offset:3380
	;; [unrolled: 1-line block ×4, first 2 shown]
	s_waitcnt vmcnt(0) lgkmcnt(0)
	s_barrier
	buffer_gl0_inv
	v_mul_f16_sdwa v55, v13, v23 dst_sel:DWORD dst_unused:UNUSED_PAD src0_sel:DWORD src1_sel:WORD_1
	v_mul_f16_sdwa v56, v36, v23 dst_sel:DWORD dst_unused:UNUSED_PAD src0_sel:DWORD src1_sel:WORD_1
	v_mul_f16_sdwa v57, v14, v24 dst_sel:DWORD dst_unused:UNUSED_PAD src0_sel:DWORD src1_sel:WORD_1
	v_mul_f16_sdwa v58, v38, v24 dst_sel:DWORD dst_unused:UNUSED_PAD src0_sel:DWORD src1_sel:WORD_1
	v_mul_f16_sdwa v21, v42, v26 dst_sel:DWORD dst_unused:UNUSED_PAD src0_sel:DWORD src1_sel:WORD_1
	v_mul_f16_sdwa v15, v44, v27 dst_sel:DWORD dst_unused:UNUSED_PAD src0_sel:DWORD src1_sel:WORD_1
	v_mul_f16_sdwa v64, v37, v29 dst_sel:DWORD dst_unused:UNUSED_PAD src0_sel:DWORD src1_sel:WORD_1
	v_mul_f16_sdwa v12, v46, v29 dst_sel:DWORD dst_unused:UNUSED_PAD src0_sel:DWORD src1_sel:WORD_1
	v_mul_f16_sdwa v65, v39, v30 dst_sel:DWORD dst_unused:UNUSED_PAD src0_sel:DWORD src1_sel:WORD_1
	v_mul_f16_sdwa v16, v47, v30 dst_sel:DWORD dst_unused:UNUSED_PAD src0_sel:DWORD src1_sel:WORD_1
	v_mul_f16_sdwa v69, v53, v33 dst_sel:DWORD dst_unused:UNUSED_PAD src0_sel:DWORD src1_sel:WORD_1
	v_fma_f16 v36, v36, v23, -v55
	v_fmac_f16_e32 v56, v13, v23
	v_mul_f16_sdwa v59, v17, v25 dst_sel:DWORD dst_unused:UNUSED_PAD src0_sel:DWORD src1_sel:WORD_1
	v_mul_f16_sdwa v60, v40, v25 dst_sel:DWORD dst_unused:UNUSED_PAD src0_sel:DWORD src1_sel:WORD_1
	;; [unrolled: 1-line block ×5, first 2 shown]
	v_fma_f16 v23, v38, v24, -v57
	v_fmac_f16_e32 v58, v14, v24
	v_fmac_f16_e32 v21, v18, v26
	;; [unrolled: 1-line block ×3, first 2 shown]
	v_fma_f16 v14, v46, v29, -v64
	v_fmac_f16_e32 v12, v37, v29
	v_fma_f16 v18, v47, v30, -v65
	v_fmac_f16_e32 v16, v39, v30
	v_fma_f16 v20, v50, v33, -v69
	v_add_f16_e32 v29, v19, v36
	v_add_f16_e32 v30, v41, v56
	v_mul_f16_sdwa v63, v35, v28 dst_sel:DWORD dst_unused:UNUSED_PAD src0_sel:DWORD src1_sel:WORD_1
	v_fma_f16 v24, v40, v25, -v59
	v_fmac_f16_e32 v60, v17, v25
	v_fmac_f16_e32 v11, v35, v28
	v_add_f16_e32 v35, v23, v20
	v_sub_f16_e32 v37, v23, v20
	v_add_f16_e32 v23, v29, v23
	v_add_f16_e32 v29, v30, v58
	v_fma_f16 v25, v42, v26, -v61
	v_fma_f16 v17, v44, v27, -v62
	v_mul_f16_sdwa v71, v54, v34 dst_sel:DWORD dst_unused:UNUSED_PAD src0_sel:DWORD src1_sel:WORD_1
	v_add_f16_e32 v23, v23, v24
	v_add_f16_e32 v29, v29, v60
	v_mul_f16_sdwa v72, v51, v34 dst_sel:DWORD dst_unused:UNUSED_PAD src0_sel:DWORD src1_sel:WORD_1
	v_fma_f16 v13, v45, v28, -v63
	v_mul_f16_sdwa v70, v50, v33 dst_sel:DWORD dst_unused:UNUSED_PAD src0_sel:DWORD src1_sel:WORD_1
	v_add_f16_e32 v23, v23, v25
	v_add_f16_e32 v29, v29, v21
	v_fma_f16 v28, v51, v34, -v71
	v_fmac_f16_e32 v72, v54, v34
	v_mul_f16_sdwa v66, v43, v31 dst_sel:DWORD dst_unused:UNUSED_PAD src0_sel:DWORD src1_sel:WORD_1
	v_add_f16_e32 v23, v23, v17
	v_add_f16_e32 v29, v29, v15
	v_mul_f16_sdwa v22, v48, v31 dst_sel:DWORD dst_unused:UNUSED_PAD src0_sel:DWORD src1_sel:WORD_1
	v_mul_f16_sdwa v67, v52, v32 dst_sel:DWORD dst_unused:UNUSED_PAD src0_sel:DWORD src1_sel:WORD_1
	;; [unrolled: 1-line block ×3, first 2 shown]
	v_add_f16_e32 v23, v23, v13
	v_add_f16_e32 v29, v29, v11
	v_fmac_f16_e32 v70, v53, v33
	v_sub_f16_e32 v33, v36, v28
	v_sub_f16_e32 v34, v56, v72
	v_add_f16_e32 v23, v23, v14
	v_add_f16_e32 v29, v29, v12
	v_fma_f16 v26, v48, v31, -v66
	v_fmac_f16_e32 v22, v43, v31
	v_fma_f16 v27, v49, v32, -v67
	v_fmac_f16_e32 v68, v52, v32
	v_add_f16_e32 v31, v36, v28
	v_add_f16_e32 v32, v56, v72
	v_mul_f16_e32 v30, 0xb770, v34
	v_mul_f16_e32 v39, 0xb770, v33
	;; [unrolled: 1-line block ×7, first 2 shown]
	v_add_f16_e32 v23, v23, v18
	v_add_f16_e32 v29, v29, v16
	;; [unrolled: 1-line block ×3, first 2 shown]
	v_sub_f16_e32 v38, v58, v70
	v_mul_f16_e32 v42, 0xba95, v33
	v_mul_f16_e32 v44, 0xbbf1, v33
	;; [unrolled: 1-line block ×6, first 2 shown]
	v_fma_f16 v54, v31, 0x3b15, -v30
	v_fmamk_f16 v55, v32, 0x3b15, v39
	v_fmac_f16_e32 v30, 0x3b15, v31
	v_fma_f16 v56, v31, 0x388b, -v40
	v_fmac_f16_e32 v40, 0x388b, v31
	v_fma_f16 v58, v31, 0x2fb7, -v43
	;; [unrolled: 2-line block ×5, first 2 shown]
	v_fmac_f16_e32 v34, 0xbbc4, v31
	v_add_f16_e32 v23, v23, v26
	v_add_f16_e32 v29, v29, v22
	v_mul_f16_e32 v49, 0xba95, v38
	v_fma_f16 v39, v32, 0x3b15, -v39
	v_fmamk_f16 v57, v32, 0x388b, v42
	v_fma_f16 v42, v32, 0x388b, -v42
	v_fmamk_f16 v59, v32, 0x2fb7, v44
	;; [unrolled: 2-line block ×6, first 2 shown]
	v_add_f16_e32 v54, v19, v54
	v_add_f16_e32 v30, v19, v30
	;; [unrolled: 1-line block ×15, first 2 shown]
	v_mul_f16_e32 v52, 0xbb7b, v37
	v_mul_f16_e32 v53, 0xb3a8, v38
	v_fma_f16 v33, v35, 0x388b, -v49
	v_fmac_f16_e32 v49, 0x388b, v35
	v_add_f16_e32 v39, v41, v39
	v_add_f16_e32 v55, v41, v57
	;; [unrolled: 1-line block ×14, first 2 shown]
	v_mul_f16_e32 v51, 0xbb7b, v38
	v_fma_f16 v50, v36, 0x388b, -v50
	v_add_f16_e32 v29, v49, v30
	v_add_f16_e32 v20, v19, v28
	;; [unrolled: 1-line block ×3, first 2 shown]
	v_fma_f16 v23, v36, 0xb5ac, -v52
	v_fma_f16 v49, v35, 0xbbc4, -v53
	v_fmac_f16_e32 v53, 0xbbc4, v35
	v_fma_f16 v67, v35, 0xb5ac, -v51
	v_fmac_f16_e32 v51, 0xb5ac, v35
	v_add_f16_e32 v30, v50, v39
	v_mul_f16_e32 v50, 0xb3a8, v37
	v_add_f16_e32 v23, v23, v42
	v_mul_f16_e32 v42, 0x394e, v38
	;; [unrolled: 2-line block ×3, first 2 shown]
	v_fmamk_f16 v69, v36, 0xb5ac, v52
	v_add_f16_e32 v33, v33, v54
	v_add_f16_e32 v39, v67, v56
	;; [unrolled: 1-line block ×3, first 2 shown]
	v_fmamk_f16 v51, v36, 0xbbc4, v50
	v_fma_f16 v50, v36, 0xbbc4, -v50
	v_fma_f16 v52, v35, 0xb9fd, -v42
	v_mul_f16_e32 v54, 0x394e, v37
	v_fma_f16 v56, v35, 0x2fb7, -v53
	v_fmac_f16_e32 v53, 0x2fb7, v35
	v_add_f16_e32 v28, v69, v55
	v_add_f16_e32 v44, v50, v44
	;; [unrolled: 1-line block ×3, first 2 shown]
	v_fmamk_f16 v52, v36, 0xb9fd, v54
	v_fmac_f16_e32 v42, 0xb9fd, v35
	v_mul_f16_e32 v55, 0x3bf1, v37
	v_fma_f16 v54, v36, 0xb9fd, -v54
	v_mul_f16_e32 v38, 0x3770, v38
	v_add_f16_e32 v47, v53, v47
	v_sub_f16_e32 v53, v60, v68
	v_add_f16_e32 v49, v49, v58
	v_add_f16_e32 v51, v51, v57
	;; [unrolled: 1-line block ×3, first 2 shown]
	v_fmamk_f16 v45, v36, 0x2fb7, v55
	v_add_f16_e32 v46, v54, v46
	v_add_f16_e32 v54, v56, v63
	v_fma_f16 v55, v36, 0x2fb7, -v55
	v_fma_f16 v56, v35, 0x3b15, -v38
	v_mul_f16_e32 v37, 0x3770, v37
	v_add_f16_e32 v57, v24, v27
	v_mul_f16_e32 v58, 0xbbf1, v53
	v_sub_f16_e32 v24, v24, v27
	v_add_f16_e32 v48, v55, v48
	v_add_f16_e32 v55, v56, v65
	v_fmamk_f16 v56, v36, 0x3b15, v37
	v_fmac_f16_e32 v38, 0x3b15, v35
	v_fma_f16 v27, v36, 0x3b15, -v37
	v_add_f16_e32 v35, v60, v68
	v_fma_f16 v36, v57, 0x2fb7, -v58
	v_mul_f16_e32 v37, 0xbbf1, v24
	v_add_f16_e32 v34, v38, v34
	v_add_f16_e32 v27, v27, v32
	v_mul_f16_e32 v38, 0xb3a8, v24
	v_add_f16_e32 v32, v36, v33
	v_fmamk_f16 v33, v35, 0x2fb7, v37
	v_mul_f16_e32 v36, 0xb3a8, v53
	v_fma_f16 v37, v35, 0x2fb7, -v37
	v_add_f16_e32 v31, v56, v31
	v_mul_f16_e32 v56, 0x3b7b, v53
	v_add_f16_e32 v33, v33, v41
	v_fma_f16 v41, v57, 0xbbc4, -v36
	v_add_f16_e32 v30, v37, v30
	v_fmamk_f16 v37, v35, 0xbbc4, v38
	v_fma_f16 v38, v35, 0xbbc4, -v38
	v_fmac_f16_e32 v58, 0x2fb7, v57
	v_add_f16_e32 v39, v41, v39
	v_fmac_f16_e32 v36, 0xbbc4, v57
	v_add_f16_e32 v28, v37, v28
	v_fma_f16 v37, v57, 0xb5ac, -v56
	v_mul_f16_e32 v41, 0x3b7b, v24
	v_add_f16_e32 v23, v38, v23
	v_mul_f16_e32 v38, 0x3770, v53
	v_add_f16_e32 v29, v58, v29
	v_add_f16_e32 v36, v36, v40
	;; [unrolled: 1-line block ×3, first 2 shown]
	v_fmamk_f16 v40, v35, 0xb5ac, v41
	v_fma_f16 v41, v35, 0xb5ac, -v41
	v_fma_f16 v49, v57, 0x3b15, -v38
	v_mul_f16_e32 v58, 0x3770, v24
	v_add_f16_e32 v52, v52, v59
	v_add_f16_e32 v40, v40, v51
	;; [unrolled: 1-line block ×4, first 2 shown]
	v_fmamk_f16 v49, v35, 0x3b15, v58
	v_mul_f16_e32 v50, 0xba95, v53
	v_fmac_f16_e32 v38, 0x3b15, v57
	v_mul_f16_e32 v51, 0xba95, v24
	v_add_f16_e32 v45, v45, v62
	v_add_f16_e32 v49, v49, v52
	v_fma_f16 v52, v57, 0x388b, -v50
	v_add_f16_e32 v38, v38, v42
	v_fmamk_f16 v42, v35, 0x388b, v51
	v_mul_f16_e32 v53, 0xb94e, v53
	v_fmac_f16_e32 v50, 0x388b, v57
	v_add_f16_e32 v52, v52, v54
	v_mul_f16_e32 v24, 0xb94e, v24
	v_add_f16_e32 v42, v42, v45
	v_fma_f16 v45, v35, 0x388b, -v51
	v_fma_f16 v51, v57, 0xb9fd, -v53
	v_add_f16_e32 v47, v50, v47
	v_sub_f16_e32 v50, v21, v22
	v_add_f16_e32 v54, v25, v26
	v_add_f16_e32 v45, v45, v48
	;; [unrolled: 1-line block ×3, first 2 shown]
	v_sub_f16_e32 v25, v25, v26
	v_mul_f16_e32 v55, 0xbb7b, v50
	v_fmac_f16_e32 v56, 0xb5ac, v57
	v_fmamk_f16 v51, v35, 0xb9fd, v24
	v_fma_f16 v24, v35, 0xb9fd, -v24
	v_add_f16_e32 v21, v21, v22
	v_fma_f16 v22, v54, 0xb5ac, -v55
	v_mul_f16_e32 v26, 0xbb7b, v25
	v_add_f16_e32 v43, v56, v43
	v_fma_f16 v56, v35, 0x3b15, -v58
	v_add_f16_e32 v24, v24, v27
	v_add_f16_e32 v22, v22, v32
	v_fmamk_f16 v27, v21, 0xb5ac, v26
	v_mul_f16_e32 v32, 0x394e, v50
	v_fma_f16 v26, v21, 0xb5ac, -v26
	v_mul_f16_e32 v35, 0x394e, v25
	v_add_f16_e32 v31, v51, v31
	v_add_f16_e32 v27, v27, v33
	v_fma_f16 v33, v54, 0xb9fd, -v32
	v_add_f16_e32 v26, v26, v30
	v_fmamk_f16 v30, v21, 0xb9fd, v35
	v_mul_f16_e32 v51, 0x3770, v50
	v_fma_f16 v35, v21, 0xb9fd, -v35
	v_fmac_f16_e32 v53, 0xb9fd, v57
	v_add_f16_e32 v33, v33, v39
	v_fmac_f16_e32 v32, 0xb9fd, v54
	v_add_f16_e32 v28, v30, v28
	v_fma_f16 v30, v54, 0x3b15, -v51
	v_mul_f16_e32 v39, 0x3770, v25
	v_add_f16_e32 v23, v35, v23
	v_mul_f16_e32 v35, 0xbbf1, v50
	v_add_f16_e32 v34, v53, v34
	v_add_f16_e32 v32, v32, v36
	;; [unrolled: 1-line block ×3, first 2 shown]
	v_fmamk_f16 v36, v21, 0x3b15, v39
	v_fmac_f16_e32 v51, 0x3b15, v54
	v_fma_f16 v37, v21, 0x3b15, -v39
	v_fma_f16 v39, v54, 0x2fb7, -v35
	v_mul_f16_e32 v53, 0xbbf1, v25
	v_add_f16_e32 v36, v36, v40
	v_add_f16_e32 v40, v51, v43
	;; [unrolled: 1-line block ×4, first 2 shown]
	v_fmamk_f16 v41, v21, 0x2fb7, v53
	v_mul_f16_e32 v43, 0x33a8, v50
	v_fmac_f16_e32 v35, 0x2fb7, v54
	v_mul_f16_e32 v44, 0x33a8, v25
	v_mul_f16_e32 v50, 0x3a95, v50
	v_add_f16_e32 v41, v41, v49
	v_fma_f16 v49, v54, 0xbbc4, -v43
	v_add_f16_e32 v35, v35, v38
	v_fmamk_f16 v38, v21, 0xbbc4, v44
	v_fmac_f16_e32 v43, 0xbbc4, v54
	v_add_f16_e32 v46, v56, v46
	v_fma_f16 v51, v21, 0x2fb7, -v53
	v_mul_f16_e32 v25, 0x3a95, v25
	v_add_f16_e32 v38, v38, v42
	v_fma_f16 v42, v21, 0xbbc4, -v44
	v_fma_f16 v44, v54, 0x388b, -v50
	v_add_f16_e32 v43, v43, v47
	v_sub_f16_e32 v47, v15, v16
	v_add_f16_e32 v46, v51, v46
	v_add_f16_e32 v42, v42, v45
	;; [unrolled: 1-line block ×4, first 2 shown]
	v_mul_f16_e32 v51, 0xb94e, v47
	v_sub_f16_e32 v17, v17, v18
	v_fmamk_f16 v45, v21, 0x388b, v25
	v_fmac_f16_e32 v50, 0x388b, v54
	v_fma_f16 v18, v21, 0x388b, -v25
	v_add_f16_e32 v15, v15, v16
	v_fma_f16 v16, v48, 0xb9fd, -v51
	v_mul_f16_e32 v21, 0xb94e, v17
	v_add_f16_e32 v25, v45, v31
	v_add_f16_e32 v31, v50, v34
	;; [unrolled: 1-line block ×4, first 2 shown]
	v_fmamk_f16 v22, v15, 0xb9fd, v21
	v_mul_f16_e32 v24, 0x3bf1, v47
	v_fma_f16 v21, v15, 0xb9fd, -v21
	v_mul_f16_e32 v34, 0x3bf1, v17
	v_mul_f16_e32 v45, 0xba95, v47
	v_add_f16_e32 v22, v22, v27
	v_fma_f16 v27, v48, 0x2fb7, -v24
	v_add_f16_e32 v21, v21, v26
	v_fmamk_f16 v26, v15, 0x2fb7, v34
	v_fmac_f16_e32 v24, 0x2fb7, v48
	v_mul_f16_e32 v50, 0x33a8, v17
	v_add_f16_e32 v27, v27, v33
	v_fma_f16 v33, v15, 0x2fb7, -v34
	v_add_f16_e32 v26, v26, v28
	v_fma_f16 v28, v48, 0x388b, -v45
	v_mul_f16_e32 v34, 0xba95, v17
	v_add_f16_e32 v24, v24, v32
	v_mul_f16_e32 v32, 0x33a8, v47
	v_add_f16_e32 v23, v33, v23
	v_add_f16_e32 v28, v28, v30
	v_fmamk_f16 v30, v15, 0x388b, v34
	v_fmac_f16_e32 v45, 0x388b, v48
	v_fma_f16 v33, v15, 0x388b, -v34
	v_fma_f16 v34, v48, 0xbbc4, -v32
	v_fmac_f16_e32 v32, 0xbbc4, v48
	v_add_f16_e32 v30, v30, v36
	v_add_f16_e32 v36, v45, v40
	;; [unrolled: 1-line block ×4, first 2 shown]
	v_fmamk_f16 v37, v15, 0xbbc4, v50
	v_mul_f16_e32 v39, 0x3770, v47
	v_fma_f16 v40, v15, 0xbbc4, -v50
	v_mul_f16_e32 v45, 0x3770, v17
	v_add_f16_e32 v32, v32, v35
	v_add_f16_e32 v37, v37, v41
	v_fma_f16 v41, v48, 0x3b15, -v39
	v_add_f16_e32 v35, v40, v46
	v_fmamk_f16 v40, v15, 0x3b15, v45
	v_mul_f16_e32 v46, 0xbb7b, v47
	v_fmac_f16_e32 v39, 0x3b15, v48
	v_fma_f16 v45, v15, 0x3b15, -v45
	v_mul_f16_e32 v17, 0xbb7b, v17
	v_add_f16_e32 v38, v40, v38
	v_fma_f16 v40, v48, 0xb5ac, -v46
	v_add_f16_e32 v39, v39, v43
	v_add_f16_e32 v42, v45, v42
	v_sub_f16_e32 v43, v11, v12
	v_add_f16_e32 v45, v13, v14
	v_sub_f16_e32 v13, v13, v14
	v_add_f16_e32 v40, v40, v44
	v_fmamk_f16 v44, v15, 0xb5ac, v17
	v_mul_f16_e32 v14, 0xb3a8, v43
	v_fma_f16 v15, v15, 0xb5ac, -v17
	v_add_f16_e32 v11, v11, v12
	v_mul_f16_e32 v12, 0xb3a8, v13
	v_fmac_f16_e32 v55, 0xb5ac, v54
	v_fma_f16 v17, v45, 0xbbc4, -v14
	v_add_f16_e32 v15, v15, v18
	v_fmac_f16_e32 v51, 0xb9fd, v48
	v_fmamk_f16 v18, v11, 0xbbc4, v12
	v_add_f16_e32 v29, v55, v29
	v_fmac_f16_e32 v46, 0xb5ac, v48
	v_add_f16_e32 v16, v17, v16
	v_mul_f16_e32 v17, 0x3770, v43
	v_fma_f16 v12, v11, 0xbbc4, -v12
	v_add_f16_e32 v18, v18, v22
	v_mul_f16_e32 v22, 0x3770, v13
	v_add_f16_e32 v29, v51, v29
	v_add_f16_e32 v25, v44, v25
	;; [unrolled: 1-line block ×3, first 2 shown]
	v_fmac_f16_e32 v14, 0xbbc4, v45
	v_fma_f16 v44, v45, 0x3b15, -v17
	v_add_f16_e32 v46, v12, v21
	v_mul_f16_e32 v12, 0xb94e, v43
	v_fmamk_f16 v21, v11, 0x3b15, v22
	v_fmac_f16_e32 v17, 0x3b15, v45
	v_add_f16_e32 v14, v14, v29
	v_fma_f16 v22, v11, 0x3b15, -v22
	v_fma_f16 v29, v45, 0xb9fd, -v12
	v_add_f16_e32 v26, v21, v26
	v_mul_f16_e32 v21, 0xb94e, v13
	v_add_f16_e32 v17, v17, v24
	v_mul_f16_e32 v24, 0x3a95, v43
	v_add_f16_e32 v27, v44, v27
	v_add_f16_e32 v22, v22, v23
	;; [unrolled: 1-line block ×3, first 2 shown]
	v_fmamk_f16 v28, v11, 0xb9fd, v21
	v_fma_f16 v21, v11, 0xb9fd, -v21
	v_mul_f16_e32 v29, 0x3a95, v13
	v_fma_f16 v44, v45, 0x388b, -v24
	v_add_f16_e32 v49, v49, v52
	v_fmac_f16_e32 v12, 0xb9fd, v45
	v_add_f16_e32 v28, v28, v30
	v_add_f16_e32 v30, v21, v33
	v_fmamk_f16 v21, v11, 0x388b, v29
	v_add_f16_e32 v33, v44, v34
	v_mul_f16_e32 v34, 0xbb7b, v43
	v_add_f16_e32 v41, v41, v49
	v_add_f16_e32 v12, v12, v36
	v_fmac_f16_e32 v24, 0x388b, v45
	v_mul_f16_e32 v36, 0xbb7b, v13
	v_add_f16_e32 v37, v21, v37
	v_fma_f16 v21, v11, 0x388b, -v29
	v_fma_f16 v29, v45, 0xb5ac, -v34
	v_add_f16_e32 v24, v24, v32
	v_fmamk_f16 v32, v11, 0xb5ac, v36
	v_fmac_f16_e32 v34, 0xb5ac, v45
	v_add_f16_e32 v35, v21, v35
	v_add_f16_e32 v21, v29, v41
	v_fma_f16 v29, v11, 0xb5ac, -v36
	v_add_f16_e32 v32, v32, v38
	v_add_f16_e32 v34, v34, v39
	v_mul_f16_e32 v36, 0x3bf1, v43
	v_mul_f16_e32 v13, 0x3bf1, v13
	v_add_f16_e32 v38, v29, v42
	v_mov_b32_e32 v29, 0x152
	v_mov_b32_e32 v39, 1
	v_fma_f16 v41, v45, 0x2fb7, -v36
	v_fmamk_f16 v42, v11, 0x2fb7, v13
	v_fmac_f16_e32 v36, 0x2fb7, v45
	v_mul_u32_u24_sdwa v8, v8, v29 dst_sel:DWORD dst_unused:UNUSED_PAD src0_sel:WORD_0 src1_sel:DWORD
	v_lshlrev_b32_sdwa v10, v39, v10 dst_sel:DWORD dst_unused:UNUSED_PAD src0_sel:DWORD src1_sel:BYTE_0
	v_fma_f16 v11, v11, 0x2fb7, -v13
	v_add_f16_e32 v39, v42, v25
	v_add_f16_e32 v25, v36, v31
	;; [unrolled: 1-line block ×3, first 2 shown]
	v_add3_u32 v31, 0, v8, v10
	v_add_f16_e32 v15, v11, v15
	ds_write_b16 v31, v20
	ds_write_b16 v31, v16 offset:26
	ds_write_b16 v31, v27 offset:52
	;; [unrolled: 1-line block ×12, first 2 shown]
	s_waitcnt lgkmcnt(0)
	s_barrier
	buffer_gl0_inv
	ds_read_u16 v8, v9
	ds_read_u16 v17, v9 offset:338
	ds_read_u16 v25, v9 offset:676
	;; [unrolled: 1-line block ×12, first 2 shown]
	s_waitcnt lgkmcnt(0)
	s_barrier
	buffer_gl0_inv
	ds_write_b16 v31, v19
	ds_write_b16 v31, v18 offset:26
	ds_write_b16 v31, v26 offset:52
	;; [unrolled: 1-line block ×12, first 2 shown]
	s_waitcnt lgkmcnt(0)
	s_barrier
	buffer_gl0_inv
	s_and_saveexec_b32 s2, vcc_lo
	s_cbranch_execz .LBB0_15
; %bb.14:
	v_mul_u32_u24_e32 v14, 12, v7
	v_mul_i32_i24_e32 v7, 0xffffffe8, v7
	v_lshlrev_b32_e32 v14, 2, v14
	v_add_nc_u32_e32 v0, v0, v7
	v_mul_lo_u32 v7, s1, v5
	s_clause 0x2
	global_load_dwordx4 v[37:40], v14, s[12:13] offset:624
	global_load_dwordx4 v[41:44], v14, s[12:13] offset:656
	;; [unrolled: 1-line block ×3, first 2 shown]
	ds_read_u16 v19, v0 offset:338
	ds_read_u16 v32, v0 offset:4056
	v_mul_lo_u32 v14, s0, v6
	v_mad_u64_u32 v[5:6], null, s0, v5, 0
	ds_read_u16 v33, v0 offset:3718
	ds_read_u16 v34, v0 offset:676
	;; [unrolled: 1-line block ×6, first 2 shown]
	v_add3_u32 v6, v6, v14, v7
	ds_read_u16 v7, v0 offset:2704
	ds_read_u16 v52, v0 offset:1690
	ds_read_u16 v53, v0 offset:2028
	ds_read_u16 v54, v0 offset:2366
	ds_read_u16 v0, v0
	v_lshlrev_b64 v[5:6], 2, v[5:6]
	v_add_co_u32 v5, vcc_lo, s10, v5
	v_add_co_ci_u32_e32 v6, vcc_lo, s11, v6, vcc_lo
	s_waitcnt vmcnt(2) lgkmcnt(12)
	v_mul_f16_sdwa v55, v19, v37 dst_sel:DWORD dst_unused:UNUSED_PAD src0_sel:DWORD src1_sel:WORD_1
	s_waitcnt vmcnt(1) lgkmcnt(11)
	v_mul_f16_sdwa v56, v32, v44 dst_sel:DWORD dst_unused:UNUSED_PAD src0_sel:DWORD src1_sel:WORD_1
	v_mul_f16_sdwa v14, v9, v44 dst_sel:DWORD dst_unused:UNUSED_PAD src0_sel:DWORD src1_sel:WORD_1
	;; [unrolled: 1-line block ×3, first 2 shown]
	s_waitcnt lgkmcnt(9)
	v_mul_f16_sdwa v58, v34, v38 dst_sel:DWORD dst_unused:UNUSED_PAD src0_sel:DWORD src1_sel:WORD_1
	v_mul_f16_sdwa v59, v33, v43 dst_sel:DWORD dst_unused:UNUSED_PAD src0_sel:DWORD src1_sel:WORD_1
	;; [unrolled: 1-line block ×4, first 2 shown]
	s_waitcnt lgkmcnt(8)
	v_mul_f16_sdwa v60, v36, v39 dst_sel:DWORD dst_unused:UNUSED_PAD src0_sel:DWORD src1_sel:WORD_1
	s_waitcnt lgkmcnt(7)
	v_mul_f16_sdwa v61, v49, v42 dst_sel:DWORD dst_unused:UNUSED_PAD src0_sel:DWORD src1_sel:WORD_1
	v_mul_f16_sdwa v16, v27, v42 dst_sel:DWORD dst_unused:UNUSED_PAD src0_sel:DWORD src1_sel:WORD_1
	;; [unrolled: 1-line block ×3, first 2 shown]
	s_waitcnt lgkmcnt(6)
	v_mul_f16_sdwa v62, v50, v40 dst_sel:DWORD dst_unused:UNUSED_PAD src0_sel:DWORD src1_sel:WORD_1
	s_waitcnt lgkmcnt(5)
	v_mul_f16_sdwa v63, v51, v41 dst_sel:DWORD dst_unused:UNUSED_PAD src0_sel:DWORD src1_sel:WORD_1
	s_waitcnt vmcnt(0) lgkmcnt(4)
	v_mul_f16_sdwa v65, v7, v48 dst_sel:DWORD dst_unused:UNUSED_PAD src0_sel:DWORD src1_sel:WORD_1
	v_mul_f16_sdwa v22, v13, v48 dst_sel:DWORD dst_unused:UNUSED_PAD src0_sel:DWORD src1_sel:WORD_1
	v_fma_f16 v55, v17, v37, -v55
	v_fma_f16 v17, v9, v44, -v56
	v_fmac_f16_e32 v14, v44, v32
	v_fmac_f16_e32 v57, v37, v19
	v_mul_f16_sdwa v18, v23, v41 dst_sel:DWORD dst_unused:UNUSED_PAD src0_sel:DWORD src1_sel:WORD_1
	v_mul_f16_sdwa v30, v21, v40 dst_sel:DWORD dst_unused:UNUSED_PAD src0_sel:DWORD src1_sel:WORD_1
	s_waitcnt lgkmcnt(3)
	v_mul_f16_sdwa v64, v52, v45 dst_sel:DWORD dst_unused:UNUSED_PAD src0_sel:DWORD src1_sel:WORD_1
	s_waitcnt lgkmcnt(1)
	v_mul_f16_sdwa v67, v54, v47 dst_sel:DWORD dst_unused:UNUSED_PAD src0_sel:DWORD src1_sel:WORD_1
	v_fma_f16 v37, v25, v38, -v58
	v_fma_f16 v19, v29, v43, -v59
	v_fmac_f16_e32 v15, v43, v33
	v_fmac_f16_e32 v35, v38, v34
	v_fma_f16 v33, v20, v39, -v60
	v_fma_f16 v20, v27, v42, -v61
	v_fmac_f16_e32 v16, v42, v49
	v_fmac_f16_e32 v31, v39, v36
	v_fma_f16 v32, v21, v40, -v62
	v_fma_f16 v21, v23, v41, -v63
	;; [unrolled: 1-line block ×3, first 2 shown]
	v_fmac_f16_e32 v22, v48, v7
	v_sub_f16_e32 v39, v55, v17
	v_sub_f16_e32 v42, v57, v14
	v_add_f16_e32 v48, v8, v55
	v_mul_f16_sdwa v28, v12, v45 dst_sel:DWORD dst_unused:UNUSED_PAD src0_sel:DWORD src1_sel:WORD_1
	v_mul_f16_sdwa v66, v53, v46 dst_sel:DWORD dst_unused:UNUSED_PAD src0_sel:DWORD src1_sel:WORD_1
	;; [unrolled: 1-line block ×3, first 2 shown]
	v_fmac_f16_e32 v30, v40, v50
	v_fma_f16 v29, v12, v45, -v64
	v_fma_f16 v25, v11, v47, -v67
	v_add_f16_e32 v13, v57, v14
	v_sub_f16_e32 v40, v37, v19
	v_add_f16_e32 v12, v55, v17
	v_add_f16_e32 v11, v37, v19
	v_sub_f16_e32 v43, v35, v15
	s_waitcnt lgkmcnt(0)
	v_add_f16_e32 v49, v57, v0
	v_mul_f16_e32 v59, 0xb3a8, v42
	v_mul_f16_e32 v62, 0xb94e, v39
	v_add_f16_e32 v37, v48, v37
	v_mul_f16_sdwa v26, v10, v46 dst_sel:DWORD dst_unused:UNUSED_PAD src0_sel:DWORD src1_sel:WORD_1
	v_fmac_f16_e32 v18, v41, v51
	v_fma_f16 v27, v10, v46, -v66
	v_add_f16_e32 v9, v35, v15
	v_sub_f16_e32 v38, v33, v20
	v_add_f16_e32 v10, v33, v20
	v_sub_f16_e32 v41, v31, v16
	v_mul_f16_e32 v56, 0xb3a8, v39
	v_mul_f16_e32 v60, 0x3770, v43
	;; [unrolled: 1-line block ×5, first 2 shown]
	v_add_f16_e32 v35, v49, v35
	v_fma_f16 v100, v12, 0xbbc4, -v59
	v_fmamk_f16 v102, v13, 0xb9fd, v62
	v_add_f16_e32 v33, v37, v33
	v_add_f16_e32 v7, v31, v16
	v_sub_f16_e32 v50, v32, v21
	v_add_f16_e32 v36, v32, v21
	v_mul_f16_e32 v57, 0x3770, v40
	v_mul_f16_e32 v61, 0xb94e, v41
	;; [unrolled: 1-line block ×7, first 2 shown]
	v_fmamk_f16 v98, v13, 0xbbc4, v56
	v_fma_f16 v101, v11, 0x3b15, -v60
	v_fmamk_f16 v103, v9, 0x2fb7, v63
	v_fma_f16 v104, v12, 0xb9fd, -v65
	v_fmamk_f16 v106, v13, 0xb5ac, v67
	v_add_f16_e32 v31, v35, v31
	v_add_f16_e32 v32, v33, v32
	;; [unrolled: 1-line block ×4, first 2 shown]
	v_fma_f16 v67, v13, 0xb5ac, -v67
	v_fmac_f16_e32 v28, v45, v52
	v_fmac_f16_e32 v24, v47, v54
	v_add_f16_e32 v34, v30, v18
	v_sub_f16_e32 v51, v30, v18
	v_sub_f16_e32 v54, v29, v23
	v_add_f16_e32 v47, v29, v23
	v_mul_f16_e32 v58, 0xb94e, v38
	v_mul_f16_e32 v70, 0x394e, v43
	;; [unrolled: 1-line block ×7, first 2 shown]
	v_fmamk_f16 v99, v9, 0x3b15, v57
	v_fma_f16 v105, v11, 0x2fb7, -v66
	v_fmamk_f16 v35, v9, 0xb9fd, v68
	v_fma_f16 v37, v12, 0xb5ac, -v69
	v_add_f16_e32 v98, v0, v98
	v_add_f16_e32 v30, v31, v30
	v_fmamk_f16 v31, v13, 0x2fb7, v71
	v_add_f16_e32 v104, v8, v104
	v_add_f16_e32 v100, v100, v101
	;; [unrolled: 1-line block ×4, first 2 shown]
	v_fmamk_f16 v103, v13, 0x388b, v75
	v_fma_f16 v68, v9, 0xb9fd, -v68
	v_add_f16_e32 v67, v0, v67
	v_add_f16_e32 v29, v32, v29
	v_fma_f16 v32, v10, 0xb9fd, -v61
	v_fmac_f16_e32 v26, v46, v53
	v_add_f16_e32 v46, v28, v22
	v_sub_f16_e32 v55, v28, v22
	v_mul_f16_e32 v64, 0xba95, v38
	v_mul_f16_e32 v74, 0xb3a8, v43
	;; [unrolled: 1-line block ×7, first 2 shown]
	v_fma_f16 v107, v11, 0xb9fd, -v70
	v_fmamk_f16 v33, v9, 0xbbc4, v72
	v_add_f16_e32 v98, v98, v99
	v_fma_f16 v99, v12, 0x2fb7, -v73
	v_add_f16_e32 v104, v104, v105
	v_fmamk_f16 v105, v9, 0xb5ac, v76
	v_add_f16_e32 v37, v8, v37
	v_add_f16_e32 v35, v106, v35
	v_fma_f16 v106, v12, 0x388b, -v77
	v_add_f16_e32 v31, v0, v31
	v_add_f16_e32 v103, v0, v103
	v_fma_f16 v56, v13, 0xbbc4, -v56
	v_fmac_f16_e32 v59, 0xbbc4, v12
	v_fmac_f16_e32 v65, 0xb9fd, v12
	v_add_f16_e32 v67, v67, v68
	v_fmamk_f16 v68, v7, 0xb9fd, v58
	v_add_f16_e32 v28, v30, v28
	v_add_f16_e32 v32, v100, v32
	v_fmamk_f16 v100, v7, 0x3b15, v49
	v_fma_f16 v49, v7, 0x3b15, -v49
	v_add_f16_e32 v45, v26, v24
	v_sub_f16_e32 v53, v26, v24
	v_mul_f16_e32 v40, 0xba95, v40
	v_mul_f16_e32 v43, 0xba95, v43
	;; [unrolled: 1-line block ×8, first 2 shown]
	v_fma_f16 v101, v11, 0xbbc4, -v74
	v_add_f16_e32 v99, v8, v99
	v_add_f16_e32 v37, v37, v107
	v_fmamk_f16 v107, v13, 0x3b15, v39
	v_add_f16_e32 v31, v31, v33
	v_fma_f16 v33, v11, 0xb5ac, -v78
	v_add_f16_e32 v106, v8, v106
	v_add_f16_e32 v103, v103, v105
	v_fma_f16 v105, v12, 0x3b15, -v42
	v_fma_f16 v57, v9, 0x3b15, -v57
	v_add_f16_e32 v56, v0, v56
	v_fmac_f16_e32 v60, 0x3b15, v11
	v_add_f16_e32 v59, v8, v59
	v_fmac_f16_e32 v66, 0x2fb7, v11
	v_add_f16_e32 v65, v8, v65
	v_fmamk_f16 v30, v7, 0x388b, v64
	v_add_f16_e32 v68, v98, v68
	v_fma_f16 v98, v10, 0x388b, -v48
	v_add_f16_e32 v49, v67, v49
	v_fmamk_f16 v67, v34, 0x388b, v84
	v_add_f16_e32 v26, v28, v26
	v_sub_f16_e32 v52, v27, v25
	v_add_f16_e32 v44, v27, v25
	v_mul_f16_e32 v82, 0xb3a8, v38
	v_mul_f16_e32 v83, 0xb3a8, v41
	;; [unrolled: 1-line block ×6, first 2 shown]
	v_add_f16_e32 v99, v99, v101
	v_fmamk_f16 v101, v9, 0x388b, v40
	v_add_f16_e32 v107, v0, v107
	v_add_f16_e32 v33, v106, v33
	v_fma_f16 v106, v11, 0x388b, -v43
	v_add_f16_e32 v105, v8, v105
	v_add_f16_e32 v56, v56, v57
	;; [unrolled: 1-line block ×5, first 2 shown]
	v_fma_f16 v102, v10, 0x3b15, -v79
	v_add_f16_e32 v98, v104, v98
	v_fmamk_f16 v104, v7, 0xb5ac, v80
	v_add_f16_e32 v35, v35, v100
	v_fma_f16 v100, v10, 0xb5ac, -v81
	v_fma_f16 v58, v7, 0xb9fd, -v58
	v_fmac_f16_e32 v61, 0xb9fd, v10
	v_fmac_f16_e32 v48, 0x388b, v10
	v_add_f16_e32 v27, v29, v27
	v_fma_f16 v29, v36, 0x388b, -v85
	v_fmamk_f16 v28, v34, 0xbbc4, v86
	v_add_f16_e32 v67, v68, v67
	v_fma_f16 v68, v36, 0xbbc4, -v87
	v_add_f16_e32 v24, v26, v24
	v_mul_f16_e32 v94, 0xbb7b, v54
	v_mul_f16_e32 v95, 0xbb7b, v55
	v_add_f16_e32 v101, v107, v101
	v_add_f16_e32 v105, v105, v106
	v_mul_f16_e32 v106, 0x33a8, v55
	v_mul_f16_e32 v57, 0xba95, v54
	v_add_f16_e32 v37, v37, v102
	v_add_f16_e32 v31, v31, v104
	v_fma_f16 v104, v10, 0xbbc4, -v83
	v_add_f16_e32 v99, v99, v100
	v_fmamk_f16 v100, v7, 0x2fb7, v38
	v_add_f16_e32 v56, v56, v58
	v_add_f16_e32 v59, v59, v61
	;; [unrolled: 1-line block ×4, first 2 shown]
	v_fmamk_f16 v32, v34, 0x2fb7, v88
	v_add_f16_e32 v28, v30, v28
	v_fma_f16 v30, v36, 0x2fb7, -v89
	v_add_f16_e32 v68, v98, v68
	v_fmamk_f16 v98, v34, 0x3b15, v90
	v_fma_f16 v84, v34, 0x388b, -v84
	v_fmac_f16_e32 v85, 0x388b, v36
	v_fmac_f16_e32 v87, 0xbbc4, v36
	v_fma_f16 v88, v34, 0x2fb7, -v88
	v_add_f16_e32 v22, v22, v24
	v_add_f16_e32 v33, v33, v104
	v_mul_f16_e32 v104, 0x3bf1, v52
	v_add_f16_e32 v100, v101, v100
	v_mul_f16_e32 v101, 0x3bf1, v53
	v_add_f16_e32 v30, v37, v30
	v_add_f16_e32 v31, v31, v98
	;; [unrolled: 1-line block ×3, first 2 shown]
	v_fmamk_f16 v27, v46, 0xb5ac, v94
	v_fma_f16 v26, v47, 0xb5ac, -v95
	v_add_f16_e32 v56, v56, v84
	v_add_f16_e32 v59, v59, v85
	;; [unrolled: 1-line block ×3, first 2 shown]
	v_fma_f16 v87, v47, 0xbbc4, -v106
	v_add_f16_e32 v49, v49, v88
	v_fmamk_f16 v88, v46, 0x388b, v57
	v_fma_f16 v94, v46, 0xb5ac, -v94
	v_fmac_f16_e32 v95, 0xb5ac, v47
	v_add_f16_e32 v18, v18, v22
	v_mul_f16_e32 v107, 0x33a8, v54
	v_add_f16_e32 v30, v30, v87
	v_fmamk_f16 v87, v45, 0x2fb7, v104
	v_add_f16_e32 v31, v31, v88
	v_fma_f16 v88, v44, 0x2fb7, -v101
	v_add_f16_e32 v23, v23, v25
	v_add_f16_e32 v56, v56, v94
	;; [unrolled: 1-line block ×3, first 2 shown]
	v_fma_f16 v104, v45, 0x2fb7, -v104
	v_fmac_f16_e32 v101, 0x2fb7, v44
	v_add_f16_e32 v16, v16, v18
	v_mul_f16_e32 v61, 0x3a95, v52
	v_add_f16_e32 v21, v21, v23
	v_add_f16_e32 v22, v56, v104
	;; [unrolled: 1-line block ×3, first 2 shown]
	v_fma_f16 v59, v46, 0xbbc4, -v107
	v_add_f16_e32 v15, v15, v16
	v_fmac_f16_e32 v69, 0xb5ac, v12
	v_add_f16_e32 v20, v20, v21
	v_fmac_f16_e32 v70, 0xb9fd, v11
	v_add_f16_e32 v21, v49, v59
	v_add_f16_e32 v14, v14, v15
	v_fma_f16 v15, v45, 0x388b, -v61
	v_add_f16_e32 v23, v8, v69
	v_fma_f16 v62, v13, 0xb9fd, -v62
	v_fmac_f16_e32 v79, 0x3b15, v10
	v_add_f16_e32 v19, v19, v20
	v_add_f16_e32 v15, v21, v15
	v_fma_f16 v21, v13, 0x388b, -v75
	v_add_f16_e32 v23, v23, v70
	v_mul_f16_e32 v92, 0x394e, v50
	v_fma_f16 v63, v9, 0x2fb7, -v63
	v_add_f16_e32 v62, v0, v62
	v_fmamk_f16 v102, v7, 0xbbc4, v82
	v_add_f16_e32 v21, v0, v21
	v_fma_f16 v49, v9, 0xb5ac, -v76
	v_add_f16_e32 v23, v23, v79
	v_fmac_f16_e32 v89, 0x2fb7, v36
	v_add_f16_e32 v17, v17, v19
	v_fma_f16 v19, v13, 0x2fb7, -v71
	v_fma_f16 v13, v13, 0x3b15, -v39
	v_mul_f16_e32 v97, 0x3770, v55
	v_add_f16_e32 v62, v62, v63
	v_mul_f16_e32 v63, 0x3bf1, v54
	v_add_f16_e32 v102, v103, v102
	v_fmamk_f16 v37, v34, 0xb9fd, v92
	v_add_f16_e32 v21, v21, v49
	v_fma_f16 v49, v7, 0xbbc4, -v82
	v_add_f16_e32 v20, v23, v89
	v_add_f16_e32 v19, v0, v19
	v_fma_f16 v23, v9, 0xbbc4, -v72
	v_add_f16_e32 v0, v0, v13
	v_fma_f16 v9, v9, 0x388b, -v40
	v_mul_f16_e32 v41, 0xbbf1, v41
	v_mul_f16_e32 v91, 0x3770, v51
	;; [unrolled: 1-line block ×3, first 2 shown]
	v_fma_f16 v64, v7, 0x388b, -v64
	v_add_f16_e32 v37, v102, v37
	v_fma_f16 v85, v47, 0x3b15, -v97
	v_add_f16_e32 v26, v29, v26
	v_fmamk_f16 v29, v46, 0x2fb7, v63
	v_fmac_f16_e32 v97, 0x3b15, v47
	v_add_f16_e32 v21, v21, v49
	v_fma_f16 v49, v34, 0xb9fd, -v92
	v_mul_f16_e32 v50, 0xbb7b, v50
	v_add_f16_e32 v19, v19, v23
	v_fma_f16 v23, v7, 0xb5ac, -v80
	v_add_f16_e32 v0, v0, v9
	v_fma_f16 v7, v7, 0x2fb7, -v38
	v_mul_f16_e32 v93, 0x394e, v51
	v_mul_f16_e32 v51, 0xbb7b, v51
	;; [unrolled: 1-line block ×3, first 2 shown]
	v_fma_f16 v103, v10, 0x2fb7, -v41
	v_add_f16_e32 v62, v62, v64
	v_add_f16_e32 v32, v35, v32
	v_fma_f16 v35, v36, 0x3b15, -v91
	v_fma_f16 v86, v34, 0xbbc4, -v86
	v_add_f16_e32 v29, v37, v29
	v_fma_f16 v37, v44, 0xb5ac, -v58
	v_add_f16_e32 v48, v48, v97
	v_fmac_f16_e32 v58, 0xb5ac, v44
	v_fmac_f16_e32 v73, 0x2fb7, v12
	v_add_f16_e32 v21, v21, v49
	v_fma_f16 v49, v46, 0x2fb7, -v63
	v_fmac_f16_e32 v77, 0x388b, v12
	v_fmac_f16_e32 v42, 0x3b15, v12
	v_mul_f16_e32 v54, 0xb94e, v54
	v_add_f16_e32 v0, v0, v7
	v_fma_f16 v7, v34, 0xb5ac, -v50
	v_mul_f16_e32 v60, 0xba95, v55
	v_mul_f16_e32 v66, 0x3bf1, v55
	;; [unrolled: 1-line block ×3, first 2 shown]
	v_add_f16_e32 v103, v105, v103
	v_fma_f16 v98, v36, 0xb9fd, -v93
	v_add_f16_e32 v35, v99, v35
	v_fmamk_f16 v99, v34, 0xb5ac, v50
	v_fma_f16 v102, v36, 0xb5ac, -v51
	v_fmamk_f16 v84, v46, 0x3b15, v96
	v_add_f16_e32 v62, v62, v86
	v_fmamk_f16 v86, v46, 0xbbc4, v107
	v_add_f16_e32 v16, v48, v58
	v_add_f16_e32 v48, v8, v73
	;; [unrolled: 1-line block ×5, first 2 shown]
	v_fmac_f16_e32 v43, 0x388b, v11
	v_add_f16_e32 v0, v0, v7
	v_fma_f16 v7, v46, 0xb9fd, -v54
	v_fmac_f16_e32 v74, 0xbbc4, v11
	v_fmac_f16_e32 v78, 0xb5ac, v11
	v_mul_f16_e32 v105, 0xbb7b, v52
	v_mul_f16_e32 v64, 0x3a95, v53
	;; [unrolled: 1-line block ×3, first 2 shown]
	v_add_f16_e32 v33, v33, v98
	v_mul_f16_e32 v98, 0xb94e, v53
	v_add_f16_e32 v99, v100, v99
	v_mul_f16_e32 v100, 0x3770, v52
	;; [unrolled: 2-line block ×3, first 2 shown]
	v_mul_f16_e32 v52, 0xb3a8, v52
	v_mul_f16_e32 v53, 0xb3a8, v53
	v_add_f16_e32 v27, v67, v27
	v_fma_f16 v67, v47, 0x388b, -v60
	v_add_f16_e32 v28, v28, v84
	v_fma_f16 v84, v47, 0x2fb7, -v66
	v_add_f16_e32 v68, v68, v85
	v_fmamk_f16 v85, v46, 0xb9fd, v54
	v_add_f16_e32 v32, v32, v86
	v_fma_f16 v86, v47, 0xb9fd, -v55
	v_fma_f16 v96, v46, 0x3b15, -v96
	v_add_f16_e32 v8, v8, v43
	v_fmac_f16_e32 v41, 0x2fb7, v10
	v_add_f16_e32 v7, v0, v7
	v_lshlrev_b64 v[0:1], 2, v[1:2]
	v_add_f16_e32 v19, v19, v23
	v_fma_f16 v23, v34, 0x3b15, -v90
	v_add_f16_e32 v48, v48, v74
	v_fmac_f16_e32 v81, 0xb5ac, v10
	v_add_f16_e32 v12, v49, v78
	v_fmac_f16_e32 v83, 0xbbc4, v10
	v_add_f16_e32 v35, v35, v67
	v_add_f16_e32 v33, v33, v84
	;; [unrolled: 1-line block ×4, first 2 shown]
	v_fma_f16 v25, v44, 0xb9fd, -v98
	v_fmamk_f16 v24, v45, 0x3b15, v100
	v_fma_f16 v94, v44, 0x3b15, -v103
	v_fmamk_f16 v95, v45, 0xbbc4, v52
	v_add_f16_e32 v62, v62, v96
	v_fma_f16 v96, v44, 0xbbc4, -v53
	v_add_f16_e32 v8, v8, v41
	v_fmac_f16_e32 v51, 0xb5ac, v36
	v_lshlrev_b64 v[2:3], 2, v[3:4]
	v_add_f16_e32 v19, v19, v23
	v_fma_f16 v23, v46, 0x388b, -v57
	v_add_f16_e32 v48, v48, v81
	v_fmac_f16_e32 v91, 0x3b15, v36
	v_add_co_u32 v0, vcc_lo, v5, v0
	v_add_f16_e32 v11, v12, v83
	v_fmac_f16_e32 v93, 0xb9fd, v36
	v_add_co_ci_u32_e32 v1, vcc_lo, v6, v1, vcc_lo
	v_fmamk_f16 v102, v45, 0xb9fd, v65
	v_add_f16_e32 v25, v35, v25
	v_add_f16_e32 v24, v29, v24
	v_add_f16_e32 v29, v33, v94
	v_add_f16_e32 v33, v85, v95
	v_add_f16_e32 v35, v86, v96
	v_add_f16_e32 v8, v8, v51
	v_fmac_f16_e32 v55, 0xb9fd, v47
	v_fmamk_f16 v84, v45, 0x388b, v61
	v_fma_f16 v99, v44, 0x388b, -v64
	v_fmac_f16_e32 v106, 0xbbc4, v47
	v_fmamk_f16 v67, v45, 0xb5ac, v105
	v_add_f16_e32 v19, v19, v23
	v_fma_f16 v23, v45, 0xb9fd, -v65
	v_add_f16_e32 v48, v48, v91
	v_fmac_f16_e32 v60, 0x388b, v47
	v_add_co_u32 v0, vcc_lo, v0, v2
	v_add_f16_e32 v9, v11, v93
	v_fmac_f16_e32 v66, 0x2fb7, v47
	v_add_co_ci_u32_e32 v1, vcc_lo, v1, v3, vcc_lo
	v_pack_b32_f16 v2, v17, v14
	v_add_f16_e32 v31, v31, v102
	v_fma_f16 v18, v45, 0xb5ac, -v105
	v_fma_f16 v10, v45, 0xbbc4, -v52
	v_add_f16_e32 v8, v8, v55
	v_fmac_f16_e32 v53, 0xbbc4, v44
	v_pack_b32_f16 v3, v35, v33
	v_add_f16_e32 v32, v32, v84
	v_add_f16_e32 v30, v30, v99
	;; [unrolled: 1-line block ×3, first 2 shown]
	v_fmac_f16_e32 v64, 0x388b, v44
	v_pack_b32_f16 v4, v29, v24
	v_add_f16_e32 v28, v28, v67
	v_add_f16_e32 v37, v68, v37
	;; [unrolled: 1-line block ×4, first 2 shown]
	v_fmac_f16_e32 v98, 0xb9fd, v44
	v_add_f16_e32 v27, v27, v87
	v_add_f16_e32 v26, v26, v88
	v_fma_f16 v48, v45, 0x3b15, -v100
	v_add_f16_e32 v9, v9, v66
	v_fmac_f16_e32 v103, 0x3b15, v44
	global_store_dword v[0:1], v2, off
	global_store_dword v[0:1], v3, off offset:676
	global_store_dword v[0:1], v4, off offset:1352
	v_add_co_u32 v2, vcc_lo, 0x800, v0
	v_add_f16_e32 v18, v62, v18
	v_add_f16_e32 v6, v7, v10
	;; [unrolled: 1-line block ×3, first 2 shown]
	v_pack_b32_f16 v8, v25, v31
	v_add_f16_e32 v20, v20, v64
	v_pack_b32_f16 v10, v30, v32
	v_add_co_ci_u32_e32 v3, vcc_lo, 0, v1, vcc_lo
	v_add_f16_e32 v23, v23, v98
	v_pack_b32_f16 v11, v37, v28
	v_add_co_u32 v4, vcc_lo, 0x1000, v0
	v_add_f16_e32 v21, v21, v48
	v_add_f16_e32 v9, v9, v103
	v_pack_b32_f16 v12, v26, v27
	v_pack_b32_f16 v13, v56, v22
	v_add_co_ci_u32_e32 v5, vcc_lo, 0, v1, vcc_lo
	global_store_dword v[0:1], v8, off offset:2028
	global_store_dword v[2:3], v10, off offset:656
	;; [unrolled: 1-line block ×5, first 2 shown]
	v_pack_b32_f16 v2, v16, v18
	v_add_co_u32 v0, vcc_lo, 0x1800, v0
	v_pack_b32_f16 v3, v20, v15
	v_pack_b32_f16 v8, v23, v19
	v_add_co_ci_u32_e32 v1, vcc_lo, 0, v1, vcc_lo
	v_pack_b32_f16 v9, v9, v21
	v_pack_b32_f16 v6, v7, v6
	global_store_dword v[4:5], v2, off offset:1312
	global_store_dword v[4:5], v3, off offset:1988
	;; [unrolled: 1-line block ×5, first 2 shown]
.LBB0_15:
	s_endpgm
	.section	.rodata,"a",@progbits
	.p2align	6, 0x0
	.amdhsa_kernel fft_rtc_fwd_len2197_factors_13_13_13_wgs_169_tpt_169_halfLds_half_op_CI_CI_unitstride_sbrr_dirReg
		.amdhsa_group_segment_fixed_size 0
		.amdhsa_private_segment_fixed_size 0
		.amdhsa_kernarg_size 104
		.amdhsa_user_sgpr_count 6
		.amdhsa_user_sgpr_private_segment_buffer 1
		.amdhsa_user_sgpr_dispatch_ptr 0
		.amdhsa_user_sgpr_queue_ptr 0
		.amdhsa_user_sgpr_kernarg_segment_ptr 1
		.amdhsa_user_sgpr_dispatch_id 0
		.amdhsa_user_sgpr_flat_scratch_init 0
		.amdhsa_user_sgpr_private_segment_size 0
		.amdhsa_wavefront_size32 1
		.amdhsa_uses_dynamic_stack 0
		.amdhsa_system_sgpr_private_segment_wavefront_offset 0
		.amdhsa_system_sgpr_workgroup_id_x 1
		.amdhsa_system_sgpr_workgroup_id_y 0
		.amdhsa_system_sgpr_workgroup_id_z 0
		.amdhsa_system_sgpr_workgroup_info 0
		.amdhsa_system_vgpr_workitem_id 0
		.amdhsa_next_free_vgpr 108
		.amdhsa_next_free_sgpr 27
		.amdhsa_reserve_vcc 1
		.amdhsa_reserve_flat_scratch 0
		.amdhsa_float_round_mode_32 0
		.amdhsa_float_round_mode_16_64 0
		.amdhsa_float_denorm_mode_32 3
		.amdhsa_float_denorm_mode_16_64 3
		.amdhsa_dx10_clamp 1
		.amdhsa_ieee_mode 1
		.amdhsa_fp16_overflow 0
		.amdhsa_workgroup_processor_mode 1
		.amdhsa_memory_ordered 1
		.amdhsa_forward_progress 0
		.amdhsa_shared_vgpr_count 0
		.amdhsa_exception_fp_ieee_invalid_op 0
		.amdhsa_exception_fp_denorm_src 0
		.amdhsa_exception_fp_ieee_div_zero 0
		.amdhsa_exception_fp_ieee_overflow 0
		.amdhsa_exception_fp_ieee_underflow 0
		.amdhsa_exception_fp_ieee_inexact 0
		.amdhsa_exception_int_div_zero 0
	.end_amdhsa_kernel
	.text
.Lfunc_end0:
	.size	fft_rtc_fwd_len2197_factors_13_13_13_wgs_169_tpt_169_halfLds_half_op_CI_CI_unitstride_sbrr_dirReg, .Lfunc_end0-fft_rtc_fwd_len2197_factors_13_13_13_wgs_169_tpt_169_halfLds_half_op_CI_CI_unitstride_sbrr_dirReg
                                        ; -- End function
	.section	.AMDGPU.csdata,"",@progbits
; Kernel info:
; codeLenInByte = 11372
; NumSgprs: 29
; NumVgprs: 108
; ScratchSize: 0
; MemoryBound: 0
; FloatMode: 240
; IeeeMode: 1
; LDSByteSize: 0 bytes/workgroup (compile time only)
; SGPRBlocks: 3
; VGPRBlocks: 13
; NumSGPRsForWavesPerEU: 29
; NumVGPRsForWavesPerEU: 108
; Occupancy: 9
; WaveLimiterHint : 1
; COMPUTE_PGM_RSRC2:SCRATCH_EN: 0
; COMPUTE_PGM_RSRC2:USER_SGPR: 6
; COMPUTE_PGM_RSRC2:TRAP_HANDLER: 0
; COMPUTE_PGM_RSRC2:TGID_X_EN: 1
; COMPUTE_PGM_RSRC2:TGID_Y_EN: 0
; COMPUTE_PGM_RSRC2:TGID_Z_EN: 0
; COMPUTE_PGM_RSRC2:TIDIG_COMP_CNT: 0
	.text
	.p2alignl 6, 3214868480
	.fill 48, 4, 3214868480
	.type	__hip_cuid_269f451c331fead5,@object ; @__hip_cuid_269f451c331fead5
	.section	.bss,"aw",@nobits
	.globl	__hip_cuid_269f451c331fead5
__hip_cuid_269f451c331fead5:
	.byte	0                               ; 0x0
	.size	__hip_cuid_269f451c331fead5, 1

	.ident	"AMD clang version 19.0.0git (https://github.com/RadeonOpenCompute/llvm-project roc-6.4.0 25133 c7fe45cf4b819c5991fe208aaa96edf142730f1d)"
	.section	".note.GNU-stack","",@progbits
	.addrsig
	.addrsig_sym __hip_cuid_269f451c331fead5
	.amdgpu_metadata
---
amdhsa.kernels:
  - .args:
      - .actual_access:  read_only
        .address_space:  global
        .offset:         0
        .size:           8
        .value_kind:     global_buffer
      - .offset:         8
        .size:           8
        .value_kind:     by_value
      - .actual_access:  read_only
        .address_space:  global
        .offset:         16
        .size:           8
        .value_kind:     global_buffer
      - .actual_access:  read_only
        .address_space:  global
        .offset:         24
        .size:           8
        .value_kind:     global_buffer
      - .actual_access:  read_only
        .address_space:  global
        .offset:         32
        .size:           8
        .value_kind:     global_buffer
      - .offset:         40
        .size:           8
        .value_kind:     by_value
      - .actual_access:  read_only
        .address_space:  global
        .offset:         48
        .size:           8
        .value_kind:     global_buffer
      - .actual_access:  read_only
        .address_space:  global
        .offset:         56
        .size:           8
        .value_kind:     global_buffer
      - .offset:         64
        .size:           4
        .value_kind:     by_value
      - .actual_access:  read_only
        .address_space:  global
        .offset:         72
        .size:           8
        .value_kind:     global_buffer
      - .actual_access:  read_only
        .address_space:  global
        .offset:         80
        .size:           8
        .value_kind:     global_buffer
      - .actual_access:  read_only
        .address_space:  global
        .offset:         88
        .size:           8
        .value_kind:     global_buffer
      - .actual_access:  write_only
        .address_space:  global
        .offset:         96
        .size:           8
        .value_kind:     global_buffer
    .group_segment_fixed_size: 0
    .kernarg_segment_align: 8
    .kernarg_segment_size: 104
    .language:       OpenCL C
    .language_version:
      - 2
      - 0
    .max_flat_workgroup_size: 169
    .name:           fft_rtc_fwd_len2197_factors_13_13_13_wgs_169_tpt_169_halfLds_half_op_CI_CI_unitstride_sbrr_dirReg
    .private_segment_fixed_size: 0
    .sgpr_count:     29
    .sgpr_spill_count: 0
    .symbol:         fft_rtc_fwd_len2197_factors_13_13_13_wgs_169_tpt_169_halfLds_half_op_CI_CI_unitstride_sbrr_dirReg.kd
    .uniform_work_group_size: 1
    .uses_dynamic_stack: false
    .vgpr_count:     108
    .vgpr_spill_count: 0
    .wavefront_size: 32
    .workgroup_processor_mode: 1
amdhsa.target:   amdgcn-amd-amdhsa--gfx1030
amdhsa.version:
  - 1
  - 2
...

	.end_amdgpu_metadata
